;; amdgpu-corpus repo=ROCm/rocFFT kind=compiled arch=gfx1030 opt=O3
	.text
	.amdgcn_target "amdgcn-amd-amdhsa--gfx1030"
	.amdhsa_code_object_version 6
	.protected	fft_rtc_fwd_len714_factors_3_17_7_2_wgs_51_tpt_51_halfLds_dp_ip_CI_sbrr_dirReg ; -- Begin function fft_rtc_fwd_len714_factors_3_17_7_2_wgs_51_tpt_51_halfLds_dp_ip_CI_sbrr_dirReg
	.globl	fft_rtc_fwd_len714_factors_3_17_7_2_wgs_51_tpt_51_halfLds_dp_ip_CI_sbrr_dirReg
	.p2align	8
	.type	fft_rtc_fwd_len714_factors_3_17_7_2_wgs_51_tpt_51_halfLds_dp_ip_CI_sbrr_dirReg,@function
fft_rtc_fwd_len714_factors_3_17_7_2_wgs_51_tpt_51_halfLds_dp_ip_CI_sbrr_dirReg: ; @fft_rtc_fwd_len714_factors_3_17_7_2_wgs_51_tpt_51_halfLds_dp_ip_CI_sbrr_dirReg
; %bb.0:
	s_clause 0x2
	s_load_dwordx2 s[14:15], s[4:5], 0x18
	s_load_dwordx4 s[8:11], s[4:5], 0x0
	s_load_dwordx2 s[12:13], s[4:5], 0x50
	v_mul_u32_u24_e32 v1, 0x506, v0
	v_mov_b32_e32 v3, 0
	v_add_nc_u32_sdwa v5, s6, v1 dst_sel:DWORD dst_unused:UNUSED_PAD src0_sel:DWORD src1_sel:WORD_1
	v_mov_b32_e32 v1, 0
	v_mov_b32_e32 v6, v3
	v_mov_b32_e32 v2, 0
	s_waitcnt lgkmcnt(0)
	s_load_dwordx2 s[2:3], s[14:15], 0x0
	v_cmp_lt_u64_e64 s0, s[10:11], 2
	s_and_b32 vcc_lo, exec_lo, s0
	s_cbranch_vccnz .LBB0_8
; %bb.1:
	s_load_dwordx2 s[0:1], s[4:5], 0x10
	v_mov_b32_e32 v1, 0
	s_add_u32 s6, s14, 8
	v_mov_b32_e32 v2, 0
	s_addc_u32 s7, s15, 0
	s_mov_b64 s[18:19], 1
	s_waitcnt lgkmcnt(0)
	s_add_u32 s16, s0, 8
	s_addc_u32 s17, s1, 0
.LBB0_2:                                ; =>This Inner Loop Header: Depth=1
	s_load_dwordx2 s[20:21], s[16:17], 0x0
                                        ; implicit-def: $vgpr7_vgpr8
	s_mov_b32 s0, exec_lo
	s_waitcnt lgkmcnt(0)
	v_or_b32_e32 v4, s21, v6
	v_cmpx_ne_u64_e32 0, v[3:4]
	s_xor_b32 s1, exec_lo, s0
	s_cbranch_execz .LBB0_4
; %bb.3:                                ;   in Loop: Header=BB0_2 Depth=1
	v_cvt_f32_u32_e32 v4, s20
	v_cvt_f32_u32_e32 v7, s21
	s_sub_u32 s0, 0, s20
	s_subb_u32 s22, 0, s21
	v_fmac_f32_e32 v4, 0x4f800000, v7
	v_rcp_f32_e32 v4, v4
	v_mul_f32_e32 v4, 0x5f7ffffc, v4
	v_mul_f32_e32 v7, 0x2f800000, v4
	v_trunc_f32_e32 v7, v7
	v_fmac_f32_e32 v4, 0xcf800000, v7
	v_cvt_u32_f32_e32 v7, v7
	v_cvt_u32_f32_e32 v4, v4
	v_mul_lo_u32 v8, s0, v7
	v_mul_hi_u32 v9, s0, v4
	v_mul_lo_u32 v10, s22, v4
	v_add_nc_u32_e32 v8, v9, v8
	v_mul_lo_u32 v9, s0, v4
	v_add_nc_u32_e32 v8, v8, v10
	v_mul_hi_u32 v10, v4, v9
	v_mul_lo_u32 v11, v4, v8
	v_mul_hi_u32 v12, v4, v8
	v_mul_hi_u32 v13, v7, v9
	v_mul_lo_u32 v9, v7, v9
	v_mul_hi_u32 v14, v7, v8
	v_mul_lo_u32 v8, v7, v8
	v_add_co_u32 v10, vcc_lo, v10, v11
	v_add_co_ci_u32_e32 v11, vcc_lo, 0, v12, vcc_lo
	v_add_co_u32 v9, vcc_lo, v10, v9
	v_add_co_ci_u32_e32 v9, vcc_lo, v11, v13, vcc_lo
	v_add_co_ci_u32_e32 v10, vcc_lo, 0, v14, vcc_lo
	v_add_co_u32 v8, vcc_lo, v9, v8
	v_add_co_ci_u32_e32 v9, vcc_lo, 0, v10, vcc_lo
	v_add_co_u32 v4, vcc_lo, v4, v8
	v_add_co_ci_u32_e32 v7, vcc_lo, v7, v9, vcc_lo
	v_mul_hi_u32 v8, s0, v4
	v_mul_lo_u32 v10, s22, v4
	v_mul_lo_u32 v9, s0, v7
	v_add_nc_u32_e32 v8, v8, v9
	v_mul_lo_u32 v9, s0, v4
	v_add_nc_u32_e32 v8, v8, v10
	v_mul_hi_u32 v10, v4, v9
	v_mul_lo_u32 v11, v4, v8
	v_mul_hi_u32 v12, v4, v8
	v_mul_hi_u32 v13, v7, v9
	v_mul_lo_u32 v9, v7, v9
	v_mul_hi_u32 v14, v7, v8
	v_mul_lo_u32 v8, v7, v8
	v_add_co_u32 v10, vcc_lo, v10, v11
	v_add_co_ci_u32_e32 v11, vcc_lo, 0, v12, vcc_lo
	v_add_co_u32 v9, vcc_lo, v10, v9
	v_add_co_ci_u32_e32 v9, vcc_lo, v11, v13, vcc_lo
	v_add_co_ci_u32_e32 v10, vcc_lo, 0, v14, vcc_lo
	v_add_co_u32 v8, vcc_lo, v9, v8
	v_add_co_ci_u32_e32 v9, vcc_lo, 0, v10, vcc_lo
	v_add_co_u32 v4, vcc_lo, v4, v8
	v_add_co_ci_u32_e32 v11, vcc_lo, v7, v9, vcc_lo
	v_mul_hi_u32 v13, v5, v4
	v_mad_u64_u32 v[9:10], null, v6, v4, 0
	v_mad_u64_u32 v[7:8], null, v5, v11, 0
	;; [unrolled: 1-line block ×3, first 2 shown]
	v_add_co_u32 v4, vcc_lo, v13, v7
	v_add_co_ci_u32_e32 v7, vcc_lo, 0, v8, vcc_lo
	v_add_co_u32 v4, vcc_lo, v4, v9
	v_add_co_ci_u32_e32 v4, vcc_lo, v7, v10, vcc_lo
	v_add_co_ci_u32_e32 v7, vcc_lo, 0, v12, vcc_lo
	v_add_co_u32 v4, vcc_lo, v4, v11
	v_add_co_ci_u32_e32 v9, vcc_lo, 0, v7, vcc_lo
	v_mul_lo_u32 v10, s21, v4
	v_mad_u64_u32 v[7:8], null, s20, v4, 0
	v_mul_lo_u32 v11, s20, v9
	v_sub_co_u32 v7, vcc_lo, v5, v7
	v_add3_u32 v8, v8, v11, v10
	v_sub_nc_u32_e32 v10, v6, v8
	v_subrev_co_ci_u32_e64 v10, s0, s21, v10, vcc_lo
	v_add_co_u32 v11, s0, v4, 2
	v_add_co_ci_u32_e64 v12, s0, 0, v9, s0
	v_sub_co_u32 v13, s0, v7, s20
	v_sub_co_ci_u32_e32 v8, vcc_lo, v6, v8, vcc_lo
	v_subrev_co_ci_u32_e64 v10, s0, 0, v10, s0
	v_cmp_le_u32_e32 vcc_lo, s20, v13
	v_cmp_eq_u32_e64 s0, s21, v8
	v_cndmask_b32_e64 v13, 0, -1, vcc_lo
	v_cmp_le_u32_e32 vcc_lo, s21, v10
	v_cndmask_b32_e64 v14, 0, -1, vcc_lo
	v_cmp_le_u32_e32 vcc_lo, s20, v7
	;; [unrolled: 2-line block ×3, first 2 shown]
	v_cndmask_b32_e64 v15, 0, -1, vcc_lo
	v_cmp_eq_u32_e32 vcc_lo, s21, v10
	v_cndmask_b32_e64 v7, v15, v7, s0
	v_cndmask_b32_e32 v10, v14, v13, vcc_lo
	v_add_co_u32 v13, vcc_lo, v4, 1
	v_add_co_ci_u32_e32 v14, vcc_lo, 0, v9, vcc_lo
	v_cmp_ne_u32_e32 vcc_lo, 0, v10
	v_cndmask_b32_e32 v8, v14, v12, vcc_lo
	v_cndmask_b32_e32 v10, v13, v11, vcc_lo
	v_cmp_ne_u32_e32 vcc_lo, 0, v7
	v_cndmask_b32_e32 v8, v9, v8, vcc_lo
	v_cndmask_b32_e32 v7, v4, v10, vcc_lo
.LBB0_4:                                ;   in Loop: Header=BB0_2 Depth=1
	s_andn2_saveexec_b32 s0, s1
	s_cbranch_execz .LBB0_6
; %bb.5:                                ;   in Loop: Header=BB0_2 Depth=1
	v_cvt_f32_u32_e32 v4, s20
	s_sub_i32 s1, 0, s20
	v_rcp_iflag_f32_e32 v4, v4
	v_mul_f32_e32 v4, 0x4f7ffffe, v4
	v_cvt_u32_f32_e32 v4, v4
	v_mul_lo_u32 v7, s1, v4
	v_mul_hi_u32 v7, v4, v7
	v_add_nc_u32_e32 v4, v4, v7
	v_mul_hi_u32 v4, v5, v4
	v_mul_lo_u32 v7, v4, s20
	v_add_nc_u32_e32 v8, 1, v4
	v_sub_nc_u32_e32 v7, v5, v7
	v_subrev_nc_u32_e32 v9, s20, v7
	v_cmp_le_u32_e32 vcc_lo, s20, v7
	v_cndmask_b32_e32 v7, v7, v9, vcc_lo
	v_cndmask_b32_e32 v4, v4, v8, vcc_lo
	v_cmp_le_u32_e32 vcc_lo, s20, v7
	v_add_nc_u32_e32 v8, 1, v4
	v_cndmask_b32_e32 v7, v4, v8, vcc_lo
	v_mov_b32_e32 v8, v3
.LBB0_6:                                ;   in Loop: Header=BB0_2 Depth=1
	s_or_b32 exec_lo, exec_lo, s0
	s_load_dwordx2 s[0:1], s[6:7], 0x0
	v_mul_lo_u32 v4, v8, s20
	v_mul_lo_u32 v11, v7, s21
	v_mad_u64_u32 v[9:10], null, v7, s20, 0
	s_add_u32 s18, s18, 1
	s_addc_u32 s19, s19, 0
	s_add_u32 s6, s6, 8
	s_addc_u32 s7, s7, 0
	;; [unrolled: 2-line block ×3, first 2 shown]
	v_add3_u32 v4, v10, v11, v4
	v_sub_co_u32 v5, vcc_lo, v5, v9
	v_sub_co_ci_u32_e32 v4, vcc_lo, v6, v4, vcc_lo
	s_waitcnt lgkmcnt(0)
	v_mul_lo_u32 v6, s1, v5
	v_mul_lo_u32 v4, s0, v4
	v_mad_u64_u32 v[1:2], null, s0, v5, v[1:2]
	v_cmp_ge_u64_e64 s0, s[18:19], s[10:11]
	s_and_b32 vcc_lo, exec_lo, s0
	v_add3_u32 v2, v6, v2, v4
	s_cbranch_vccnz .LBB0_9
; %bb.7:                                ;   in Loop: Header=BB0_2 Depth=1
	v_mov_b32_e32 v5, v7
	v_mov_b32_e32 v6, v8
	s_branch .LBB0_2
.LBB0_8:
	v_mov_b32_e32 v8, v6
	v_mov_b32_e32 v7, v5
.LBB0_9:
	s_lshl_b64 s[0:1], s[10:11], 3
	v_mul_hi_u32 v3, 0x5050506, v0
	s_add_u32 s0, s14, s0
	s_addc_u32 s1, s15, s1
	s_load_dwordx2 s[4:5], s[4:5], 0x20
	s_load_dwordx2 s[0:1], s[0:1], 0x0
                                        ; implicit-def: $vgpr94
                                        ; implicit-def: $vgpr95
                                        ; implicit-def: $vgpr97
	v_mul_u32_u24_e32 v3, 51, v3
	v_sub_nc_u32_e32 v90, v0, v3
	v_add_nc_u32_e32 v121, 51, v90
	v_add_nc_u32_e32 v120, 0x66, v90
	v_add_nc_u32_e32 v122, 0x99, v90
	s_waitcnt lgkmcnt(0)
	v_cmp_gt_u64_e32 vcc_lo, s[4:5], v[7:8]
	v_mul_lo_u32 v3, s0, v8
	v_mul_lo_u32 v4, s1, v7
	v_mad_u64_u32 v[0:1], null, s0, v7, v[1:2]
	v_cmp_le_u64_e64 s0, s[4:5], v[7:8]
	v_add3_u32 v1, v4, v1, v3
	s_and_saveexec_b32 s1, s0
	s_xor_b32 s0, exec_lo, s1
; %bb.10:
	v_add_nc_u32_e32 v94, 51, v90
	v_add_nc_u32_e32 v95, 0x66, v90
	;; [unrolled: 1-line block ×3, first 2 shown]
; %bb.11:
	s_or_saveexec_b32 s1, s0
	v_lshlrev_b64 v[92:93], 4, v[0:1]
                                        ; implicit-def: $vgpr80_vgpr81
                                        ; implicit-def: $vgpr88_vgpr89
                                        ; implicit-def: $vgpr84_vgpr85
                                        ; implicit-def: $vgpr60_vgpr61
                                        ; implicit-def: $vgpr68_vgpr69
                                        ; implicit-def: $vgpr64_vgpr65
                                        ; implicit-def: $vgpr56_vgpr57
                                        ; implicit-def: $vgpr76_vgpr77
                                        ; implicit-def: $vgpr72_vgpr73
                                        ; implicit-def: $vgpr20_vgpr21
                                        ; implicit-def: $vgpr40_vgpr41
                                        ; implicit-def: $vgpr8_vgpr9
                                        ; implicit-def: $vgpr2_vgpr3
                                        ; implicit-def: $vgpr16_vgpr17
                                        ; implicit-def: $vgpr12_vgpr13
	s_xor_b32 exec_lo, exec_lo, s1
	s_cbranch_execz .LBB0_15
; %bb.12:
	v_add_nc_u32_e32 v10, 0xee, v90
	v_mad_u64_u32 v[0:1], null, s2, v90, 0
	v_add_nc_u32_e32 v12, 0x1dc, v90
	v_mad_u64_u32 v[8:9], null, s2, v121, 0
	v_mad_u64_u32 v[2:3], null, s2, v10, 0
	v_mad_u64_u32 v[6:7], null, s2, v12, 0
	v_add_nc_u32_e32 v29, 0x154, v90
	v_add_nc_u32_e32 v32, 0x242, v90
	;; [unrolled: 1-line block ×3, first 2 shown]
	s_mov_b32 s4, exec_lo
	v_mad_u64_u32 v[4:5], null, s3, v90, v[1:2]
	v_mov_b32_e32 v1, v3
	v_mad_u64_u32 v[24:25], null, s2, v29, 0
                                        ; implicit-def: $vgpr82_vgpr83
                                        ; implicit-def: $vgpr86_vgpr87
                                        ; implicit-def: $vgpr78_vgpr79
	v_mad_u64_u32 v[10:11], null, s3, v10, v[1:2]
	v_mov_b32_e32 v1, v4
	v_add_co_u32 v4, s0, s12, v92
	v_add_co_ci_u32_e64 v5, s0, s13, v93, s0
	v_lshlrev_b64 v[0:1], 4, v[0:1]
	v_mov_b32_e32 v3, v10
	v_mad_u64_u32 v[10:11], null, s3, v12, v[7:8]
	v_add_nc_u32_e32 v11, 0x121, v90
	v_add_nc_u32_e32 v12, 0x20f, v90
	v_lshlrev_b64 v[2:3], 4, v[2:3]
	v_add_co_u32 v0, s0, v4, v0
	v_mad_u64_u32 v[18:19], null, s2, v11, 0
	v_mad_u64_u32 v[20:21], null, s2, v12, 0
	v_mov_b32_e32 v7, v10
	v_mad_u64_u32 v[9:10], null, s3, v121, v[9:10]
	v_add_co_ci_u32_e64 v1, s0, v5, v1, s0
	v_mov_b32_e32 v10, v19
	v_lshlrev_b64 v[6:7], 4, v[6:7]
	v_add_co_u32 v2, s0, v4, v2
	v_lshlrev_b64 v[8:9], 4, v[8:9]
	v_mad_u64_u32 v[10:11], null, s3, v11, v[10:11]
	v_mov_b32_e32 v11, v21
	v_add_co_ci_u32_e64 v3, s0, v5, v3, s0
	v_add_co_u32 v6, s0, v4, v6
	v_mad_u64_u32 v[21:22], null, s3, v12, v[11:12]
	v_mad_u64_u32 v[22:23], null, s2, v120, 0
	v_mov_b32_e32 v19, v10
	v_add_co_ci_u32_e64 v7, s0, v5, v7, s0
	v_add_co_u32 v8, s0, v4, v8
	v_lshlrev_b64 v[18:19], 4, v[18:19]
	v_mad_u64_u32 v[26:27], null, s3, v120, v[23:24]
	v_mov_b32_e32 v23, v25
	v_mad_u64_u32 v[27:28], null, s2, v32, 0
	v_lshlrev_b64 v[20:21], 4, v[20:21]
	v_add_co_ci_u32_e64 v9, s0, v5, v9, s0
	v_mad_u64_u32 v[29:30], null, s3, v29, v[23:24]
	v_mad_u64_u32 v[30:31], null, s2, v122, 0
	v_mov_b32_e32 v23, v26
	v_mov_b32_e32 v26, v28
	v_add_co_u32 v18, s0, v4, v18
	v_mov_b32_e32 v25, v29
	v_lshlrev_b64 v[22:23], 4, v[22:23]
	v_mad_u64_u32 v[28:29], null, s3, v32, v[26:27]
	v_mov_b32_e32 v26, v31
	v_mad_u64_u32 v[32:33], null, s2, v37, 0
	v_add_nc_u32_e32 v29, 0x275, v90
	v_add_co_ci_u32_e64 v19, s0, v5, v19, s0
	v_mad_u64_u32 v[34:35], null, s3, v122, v[26:27]
	v_mad_u64_u32 v[35:36], null, s2, v29, 0
	v_mov_b32_e32 v26, v33
	v_add_co_u32 v20, s0, v4, v20
	v_lshlrev_b64 v[24:25], 4, v[24:25]
	v_mov_b32_e32 v31, v34
	v_mad_u64_u32 v[33:34], null, s3, v37, v[26:27]
	v_lshlrev_b64 v[27:28], 4, v[27:28]
	v_mov_b32_e32 v26, v36
	v_add_co_ci_u32_e64 v21, s0, v5, v21, s0
	v_add_co_u32 v22, s0, v4, v22
	v_mad_u64_u32 v[36:37], null, s3, v29, v[26:27]
	v_add_co_ci_u32_e64 v23, s0, v5, v23, s0
	v_add_co_u32 v24, s0, v4, v24
	v_lshlrev_b64 v[29:30], 4, v[30:31]
	v_add_co_ci_u32_e64 v25, s0, v5, v25, s0
	v_add_co_u32 v26, s0, v4, v27
	v_lshlrev_b64 v[31:32], 4, v[32:33]
	;; [unrolled: 3-line block ×3, first 2 shown]
	v_add_co_ci_u32_e64 v29, s0, v5, v30, s0
	v_add_co_u32 v30, s0, v4, v31
	v_add_co_ci_u32_e64 v31, s0, v5, v32, s0
	v_add_co_u32 v32, s0, v4, v33
	s_clause 0x5
	global_load_dwordx4 v[10:13], v[0:1], off
	global_load_dwordx4 v[14:17], v[2:3], off
	;; [unrolled: 1-line block ×6, first 2 shown]
	v_add_co_ci_u32_e64 v33, s0, v5, v34, s0
	s_clause 0x5
	global_load_dwordx4 v[70:73], v[22:23], off
	global_load_dwordx4 v[74:77], v[24:25], off
	;; [unrolled: 1-line block ×6, first 2 shown]
	v_cmpx_gt_u32_e32 34, v90
	s_cbranch_execz .LBB0_14
; %bb.13:
	v_add_nc_u32_e32 v28, 0xcc, v90
	v_add_nc_u32_e32 v30, 0x1ba, v90
	;; [unrolled: 1-line block ×3, first 2 shown]
	v_mad_u64_u32 v[22:23], null, s2, v28, 0
	v_mad_u64_u32 v[24:25], null, s2, v30, 0
	;; [unrolled: 1-line block ×6, first 2 shown]
	v_mov_b32_e32 v23, v28
	v_mov_b32_e32 v25, v29
	v_lshlrev_b64 v[22:23], 4, v[22:23]
	v_mov_b32_e32 v27, v30
	v_lshlrev_b64 v[24:25], 4, v[24:25]
	v_add_co_u32 v22, s0, v4, v22
	v_lshlrev_b64 v[26:27], 4, v[26:27]
	v_add_co_ci_u32_e64 v23, s0, v5, v23, s0
	v_add_co_u32 v24, s0, v4, v24
	v_add_co_ci_u32_e64 v25, s0, v5, v25, s0
	v_add_co_u32 v4, s0, v4, v26
	v_add_co_ci_u32_e64 v5, s0, v5, v27, s0
	s_clause 0x2
	global_load_dwordx4 v[82:85], v[22:23], off
	global_load_dwordx4 v[86:89], v[24:25], off
	;; [unrolled: 1-line block ×3, first 2 shown]
.LBB0_14:
	s_or_b32 exec_lo, exec_lo, s4
	v_mov_b32_e32 v97, v122
	v_mov_b32_e32 v95, v120
	;; [unrolled: 1-line block ×3, first 2 shown]
.LBB0_15:
	s_or_b32 exec_lo, exec_lo, s1
	s_waitcnt vmcnt(9)
	v_add_f64 v[4:5], v[0:1], v[14:15]
	s_waitcnt vmcnt(6)
	v_add_f64 v[22:23], v[18:19], v[38:39]
	;; [unrolled: 2-line block ×4, first 2 shown]
	v_add_f64 v[28:29], v[78:79], v[86:87]
	v_add_f64 v[30:31], v[38:39], v[6:7]
	;; [unrolled: 1-line block ×3, first 2 shown]
	v_add_f64 v[34:35], v[16:17], -v[2:3]
	v_add_f64 v[36:37], v[74:75], v[70:71]
	v_add_f64 v[42:43], v[66:67], v[62:63]
	;; [unrolled: 1-line block ×3, first 2 shown]
	v_add_f64 v[46:47], v[40:41], -v[20:21]
	v_add_f64 v[102:103], v[76:77], -v[56:57]
	v_add_f64 v[104:105], v[68:69], -v[60:61]
	v_add_f64 v[106:107], v[88:89], -v[80:81]
	s_mov_b32 s0, 0xe8584caa
	s_mov_b32 s1, 0x3febb67a
	;; [unrolled: 1-line block ×4, first 2 shown]
	v_fma_f64 v[10:11], v[4:5], -0.5, v[10:11]
	v_fma_f64 v[48:49], v[22:23], -0.5, v[6:7]
	;; [unrolled: 1-line block ×5, first 2 shown]
	v_add_f64 v[70:71], v[18:19], v[30:31]
	v_add_f64 v[4:5], v[0:1], v[32:33]
	v_add_f64 v[50:51], v[54:55], v[36:37]
	v_add_f64 v[98:99], v[58:59], v[42:43]
	v_add_f64 v[22:23], v[78:79], v[44:45]
	v_fma_f64 v[6:7], v[34:35], s[0:1], v[10:11]
	v_fma_f64 v[26:27], v[34:35], s[4:5], v[10:11]
	;; [unrolled: 1-line block ×10, first 2 shown]
	v_mad_u32_u24 v62, v90, 24, 0
	v_cmp_gt_u32_e64 s1, 34, v90
	v_mad_i32_i24 v10, v94, 24, 0
	v_mad_i32_i24 v11, v95, 24, 0
	;; [unrolled: 1-line block ×3, first 2 shown]
	v_add_nc_u32_e32 v63, 0x1320, v62
	ds_write2_b64 v62, v[4:5], v[6:7] offset1:1
	ds_write_b64 v62, v[26:27] offset:16
	ds_write2_b64 v10, v[70:71], v[100:101] offset1:1
	ds_write_b64 v10, v[32:33] offset:16
	;; [unrolled: 2-line block ×4, first 2 shown]
	s_and_saveexec_b32 s0, s1
	s_cbranch_execz .LBB0_17
; %bb.16:
	ds_write2_b64 v63, v[22:23], v[24:25] offset1:1
	ds_write_b64 v62, v[34:35] offset:4912
.LBB0_17:
	s_or_b32 exec_lo, exec_lo, s0
	v_mul_i32_i24_e32 v91, 24, v94
	v_mul_i32_i24_e32 v83, 24, v95
	;; [unrolled: 1-line block ×3, first 2 shown]
	v_cmp_gt_u32_e64 s0, 42, v90
	s_waitcnt lgkmcnt(0)
	s_barrier
	buffer_gl0_inv
                                        ; implicit-def: $vgpr104_vgpr105
	s_and_saveexec_b32 s4, s0
	s_cbranch_execz .LBB0_19
; %bb.18:
	v_lshlrev_b32_e32 v4, 4, v90
	v_sub_nc_u32_e32 v10, v62, v4
	ds_read2_b64 v[26:29], v10 offset0:84 offset1:126
	ds_read2_b64 v[30:33], v10 offset0:168 offset1:210
	v_add_nc_u32_e32 v4, 0x800, v10
	v_add_nc_u32_e32 v11, 0x400, v10
	;; [unrolled: 1-line block ×4, first 2 shown]
	ds_read2_b64 v[42:45], v4 offset0:164 offset1:206
	ds_read2_b64 v[46:49], v4 offset0:80 offset1:122
	ds_read2_b64 v[4:7], v10 offset1:42
	ds_read_b64 v[104:105], v10 offset:5376
	ds_read2_b64 v[50:53], v11 offset0:124 offset1:166
	ds_read2_b64 v[22:25], v22 offset0:120 offset1:162
	;; [unrolled: 1-line block ×3, first 2 shown]
	s_waitcnt lgkmcnt(8)
	v_mov_b32_e32 v71, v29
	s_waitcnt lgkmcnt(7)
	v_mov_b32_e32 v101, v31
	v_mov_b32_e32 v100, v30
	;; [unrolled: 1-line block ×3, first 2 shown]
	s_waitcnt lgkmcnt(6)
	v_mov_b32_e32 v103, v43
	s_waitcnt lgkmcnt(5)
	v_mov_b32_e32 v99, v49
	v_mov_b32_e32 v102, v42
	;; [unrolled: 1-line block ×3, first 2 shown]
.LBB0_19:
	s_or_b32 exec_lo, exec_lo, s4
	v_add_f64 v[10:11], v[2:3], v[16:17]
	v_add_f64 v[28:29], v[20:21], v[40:41]
	;; [unrolled: 1-line block ×6, first 2 shown]
	v_add_f64 v[106:107], v[14:15], -v[0:1]
	v_add_f64 v[14:15], v[40:41], v[8:9]
	v_add_f64 v[40:41], v[76:77], v[72:73]
	;; [unrolled: 1-line block ×4, first 2 shown]
	v_add_f64 v[18:19], v[38:39], -v[18:19]
	v_add_f64 v[38:39], v[74:75], -v[54:55]
	;; [unrolled: 1-line block ×3, first 2 shown]
	s_mov_b32 s4, 0xe8584caa
	s_mov_b32 s5, 0xbfebb67a
	s_mov_b32 s7, 0x3febb67a
	s_mov_b32 s6, s4
	s_waitcnt lgkmcnt(0)
	s_barrier
	buffer_gl0_inv
	v_fma_f64 v[10:11], v[10:11], -0.5, v[12:13]
	v_fma_f64 v[28:29], v[28:29], -0.5, v[8:9]
	v_fma_f64 v[30:31], v[30:31], -0.5, v[72:73]
	v_fma_f64 v[42:43], v[42:43], -0.5, v[64:65]
	v_add_f64 v[64:65], v[86:87], -v[78:79]
	v_fma_f64 v[48:49], v[48:49], -0.5, v[84:85]
	v_add_f64 v[0:1], v[2:3], v[16:17]
	v_add_f64 v[14:15], v[20:21], v[14:15]
	;; [unrolled: 1-line block ×5, first 2 shown]
	v_fma_f64 v[2:3], v[106:107], s[4:5], v[10:11]
	v_fma_f64 v[12:13], v[106:107], s[6:7], v[10:11]
	;; [unrolled: 1-line block ×10, first 2 shown]
	v_add_nc_u32_e32 v30, 0, v91
	v_add_nc_u32_e32 v31, 0, v83
	;; [unrolled: 1-line block ×3, first 2 shown]
	ds_write2_b64 v62, v[0:1], v[2:3] offset1:1
	ds_write_b64 v62, v[12:13] offset:16
	ds_write2_b64 v30, v[14:15], v[20:21] offset1:1
	ds_write_b64 v30, v[18:19] offset:16
	;; [unrolled: 2-line block ×4, first 2 shown]
	s_and_saveexec_b32 s4, s1
	s_cbranch_execz .LBB0_21
; %bb.20:
	ds_write2_b64 v63, v[8:9], v[10:11] offset1:1
	ds_write_b64 v62, v[28:29] offset:4912
.LBB0_21:
	s_or_b32 exec_lo, exec_lo, s4
	v_lshl_add_u32 v123, v90, 3, 0
	s_waitcnt lgkmcnt(0)
	s_barrier
	buffer_gl0_inv
                                        ; implicit-def: $vgpr106_vgpr107
	s_and_saveexec_b32 s1, s0
	s_cbranch_execz .LBB0_23
; %bb.22:
	v_add_nc_u32_e32 v0, 0x800, v123
	ds_read2_b64 v[12:15], v123 offset0:84 offset1:126
	ds_read2_b64 v[16:19], v123 offset0:168 offset1:210
	v_add_nc_u32_e32 v8, 0x400, v123
	v_add_nc_u32_e32 v9, 0xc00, v123
	;; [unrolled: 1-line block ×3, first 2 shown]
	ds_read2_b64 v[38:41], v0 offset0:164 offset1:206
	ds_read2_b64 v[54:57], v0 offset0:80 offset1:122
	ds_read2_b64 v[0:3], v123 offset1:42
	ds_read_b64 v[106:107], v123 offset:5376
	ds_read2_b64 v[58:61], v8 offset0:124 offset1:166
	ds_read2_b64 v[8:11], v9 offset0:120 offset1:162
	;; [unrolled: 1-line block ×3, first 2 shown]
	s_waitcnt lgkmcnt(7)
	v_mov_b32_e32 v21, v17
	v_mov_b32_e32 v20, v16
	s_waitcnt lgkmcnt(6)
	v_mov_b32_e32 v69, v39
	s_waitcnt lgkmcnt(5)
	v_mov_b32_e32 v16, v56
	v_mov_b32_e32 v68, v38
	;; [unrolled: 1-line block ×3, first 2 shown]
.LBB0_23:
	s_or_b32 exec_lo, exec_lo, s1
	v_and_b32_e32 v38, 0xff, v90
	v_mov_b32_e32 v39, 8
	v_mul_lo_u16 v38, 0xab, v38
	v_lshrrev_b16 v91, 9, v38
	v_mul_lo_u16 v38, v91, 3
	v_sub_nc_u16 v96, v90, v38
	v_lshlrev_b32_sdwa v38, v39, v96 dst_sel:DWORD dst_unused:UNUSED_PAD src0_sel:DWORD src1_sel:BYTE_0
	s_clause 0xf
	global_load_dwordx4 v[62:65], v38, s[8:9] offset:16
	global_load_dwordx4 v[72:75], v38, s[8:9] offset:64
	global_load_dwordx4 v[76:79], v38, s[8:9] offset:80
	global_load_dwordx4 v[80:83], v38, s[8:9] offset:96
	global_load_dwordx4 v[86:89], v38, s[8:9] offset:112
	global_load_dwordx4 v[108:111], v38, s[8:9] offset:160
	global_load_dwordx4 v[112:115], v38, s[8:9] offset:32
	global_load_dwordx4 v[116:119], v38, s[8:9] offset:48
	global_load_dwordx4 v[124:127], v38, s[8:9] offset:128
	global_load_dwordx4 v[128:131], v38, s[8:9] offset:144
	global_load_dwordx4 v[132:135], v38, s[8:9]
	global_load_dwordx4 v[136:139], v38, s[8:9] offset:176
	global_load_dwordx4 v[140:143], v38, s[8:9] offset:192
	;; [unrolled: 1-line block ×5, first 2 shown]
	s_waitcnt vmcnt(0) lgkmcnt(0)
	s_barrier
	buffer_gl0_inv
	v_mul_f64 v[38:39], v[12:13], v[64:65]
	v_mul_f64 v[42:43], v[26:27], v[64:65]
	;; [unrolled: 1-line block ×32, first 2 shown]
	v_fma_f64 v[84:85], v[26:27], v[62:63], -v[38:39]
	v_fma_f64 v[82:83], v[12:13], v[62:63], v[42:43]
	v_fma_f64 v[66:67], v[32:33], v[72:73], -v[48:49]
	v_fma_f64 v[64:65], v[18:19], v[72:73], v[56:57]
	;; [unrolled: 2-line block ×16, first 2 shown]
	s_and_saveexec_b32 s1, s0
	s_cbranch_execz .LBB0_25
; %bb.24:
	v_add_f64 v[8:9], v[98:99], -v[26:27]
	s_mov_b32 s14, 0xacd6c6b4
	s_mov_b32 s16, 0x4363dd80
	;; [unrolled: 1-line block ×4, first 2 shown]
	v_add_f64 v[6:7], v[82:83], -v[28:29]
	v_add_f64 v[2:3], v[88:89], v[100:101]
	s_mov_b32 s18, 0x923c349f
	s_mov_b32 s20, 0x7c9e640b
	;; [unrolled: 1-line block ×12, first 2 shown]
	v_add_f64 v[16:17], v[76:77], -v[34:35]
	v_add_f64 v[14:15], v[84:85], v[86:87]
	s_mov_b32 s22, 0xeb564b22
	v_mul_f64 v[18:19], v[8:9], s[14:15]
	v_mul_f64 v[20:21], v[8:9], s[16:17]
	;; [unrolled: 1-line block ×4, first 2 shown]
	s_mov_b32 s4, 0xc61f0d01
	v_mul_f64 v[30:31], v[6:7], s[28:29]
	v_mul_f64 v[104:105], v[6:7], s[20:21]
	s_mov_b32 s10, 0x2b2883cd
	s_mov_b32 s24, 0x6ed5f1bb
	;; [unrolled: 1-line block ×14, first 2 shown]
	v_add_f64 v[10:11], v[70:71], -v[44:45]
	v_fma_f64 v[36:37], v[2:3], s[30:31], v[18:19]
	v_fma_f64 v[102:103], v[2:3], s[30:31], -v[18:19]
	v_fma_f64 v[106:107], v[2:3], s[34:35], v[20:21]
	v_add_f64 v[12:13], v[78:79], v[80:81]
	v_mul_f64 v[108:109], v[6:7], s[40:41]
	v_fma_f64 v[110:111], v[2:3], s[34:35], -v[20:21]
	v_mul_f64 v[112:113], v[6:7], s[44:45]
	v_mul_f64 v[114:115], v[16:17], s[16:17]
	v_fma_f64 v[116:117], v[2:3], s[24:25], v[22:23]
	v_fma_f64 v[22:23], v[2:3], s[24:25], -v[22:23]
	v_fma_f64 v[118:119], v[2:3], s[4:5], v[24:25]
	v_fma_f64 v[124:125], v[14:15], s[36:37], v[30:31]
	v_fma_f64 v[24:25], v[2:3], s[4:5], -v[24:25]
	v_fma_f64 v[30:31], v[14:15], s[36:37], -v[30:31]
	v_mul_f64 v[126:127], v[16:17], s[38:39]
	v_fma_f64 v[128:129], v[14:15], s[10:11], v[104:105]
	v_add_f64 v[130:131], v[4:5], v[88:89]
	s_mov_b32 s6, 0x3259b75e
	s_mov_b32 s42, 0x2a9d6da3
	;; [unrolled: 1-line block ×5, first 2 shown]
	v_add_f64 v[36:37], v[4:5], v[36:37]
	v_add_f64 v[102:103], v[4:5], v[102:103]
	;; [unrolled: 1-line block ×3, first 2 shown]
	s_mov_b32 s49, 0x3fe9895b
	s_mov_b32 s46, s28
	;; [unrolled: 1-line block ×3, first 2 shown]
	v_add_f64 v[18:19], v[72:73], v[74:75]
	v_mul_f64 v[132:133], v[16:17], s[46:47]
	v_fma_f64 v[104:105], v[14:15], s[10:11], -v[104:105]
	v_fma_f64 v[136:137], v[14:15], s[4:5], v[108:109]
	v_fma_f64 v[108:109], v[14:15], s[4:5], -v[108:109]
	v_add_f64 v[110:111], v[4:5], v[110:111]
	v_fma_f64 v[138:139], v[14:15], s[34:35], v[112:113]
	v_fma_f64 v[112:113], v[14:15], s[34:35], -v[112:113]
	v_add_f64 v[116:117], v[4:5], v[116:117]
	;; [unrolled: 3-line block ×3, first 2 shown]
	v_add_f64 v[24:25], v[4:5], v[24:25]
	v_add_f64 v[130:131], v[130:131], v[84:85]
	s_mov_b32 s50, 0x75d4884
	s_mov_b32 s51, 0x3fe7a5f6
	v_add_f64 v[36:37], v[124:125], v[36:37]
	v_add_f64 v[30:31], v[30:31], v[102:103]
	v_mul_f64 v[102:103], v[16:17], s[42:43]
	v_fma_f64 v[124:125], v[12:13], s[6:7], v[126:127]
	v_add_f64 v[106:107], v[128:129], v[106:107]
	v_mul_f64 v[128:129], v[10:11], s[48:49]
	s_mov_b32 s53, 0xbfeca52d
	s_mov_b32 s52, s20
	v_add_f64 v[20:21], v[64:65], -v[46:47]
	v_mul_f64 v[134:135], v[10:11], s[42:43]
	v_add_f64 v[118:119], v[4:5], v[118:119]
	v_fma_f64 v[126:127], v[12:13], s[6:7], -v[126:127]
	v_add_f64 v[104:105], v[104:105], v[110:111]
	v_mul_f64 v[110:111], v[10:11], s[16:17]
	v_fma_f64 v[142:143], v[12:13], s[36:37], v[132:133]
	v_add_f64 v[116:117], v[136:137], v[116:117]
	v_fma_f64 v[132:133], v[12:13], s[36:37], -v[132:133]
	v_add_f64 v[22:23], v[108:109], v[22:23]
	v_add_f64 v[24:25], v[112:113], v[24:25]
	v_mul_f64 v[112:113], v[10:11], s[52:53]
	v_add_f64 v[130:131], v[130:131], v[78:79]
	s_mov_b32 s55, 0xbfe58eea
	v_add_f64 v[36:37], v[140:141], v[36:37]
	v_add_f64 v[30:31], v[114:115], v[30:31]
	v_fma_f64 v[114:115], v[12:13], s[50:51], v[102:103]
	v_fma_f64 v[102:103], v[12:13], s[50:51], -v[102:103]
	v_add_f64 v[106:107], v[124:125], v[106:107]
	v_fma_f64 v[124:125], v[18:19], s[24:25], v[128:129]
	v_fma_f64 v[128:129], v[18:19], s[24:25], -v[128:129]
	s_mov_b32 s54, s42
	v_mul_f64 v[144:145], v[20:21], s[22:23]
	v_fma_f64 v[136:137], v[18:19], s[50:51], v[134:135]
	v_add_f64 v[108:109], v[138:139], v[118:119]
	v_fma_f64 v[118:119], v[18:19], s[50:51], -v[134:135]
	v_add_f64 v[134:135], v[66:67], v[68:69]
	v_mul_f64 v[138:139], v[20:21], s[26:27]
	v_add_f64 v[104:105], v[126:127], v[104:105]
	v_add_f64 v[126:127], v[50:51], -v[48:49]
	v_add_f64 v[116:117], v[142:143], v[116:117]
	v_fma_f64 v[140:141], v[18:19], s[34:35], v[110:111]
	v_mul_f64 v[142:143], v[20:21], s[46:47]
	v_fma_f64 v[110:111], v[18:19], s[34:35], -v[110:111]
	v_add_f64 v[22:23], v[132:133], v[22:23]
	v_fma_f64 v[132:133], v[18:19], s[10:11], v[112:113]
	v_fma_f64 v[112:113], v[18:19], s[10:11], -v[112:113]
	v_mul_f64 v[152:153], v[6:7], s[14:15]
	s_mov_b32 s57, 0x3fc7851a
	v_add_f64 v[24:25], v[102:103], v[24:25]
	s_mov_b32 s56, s14
	v_add_f64 v[102:103], v[124:125], v[106:107]
	v_add_f64 v[124:125], v[130:131], v[72:73]
	v_mul_f64 v[106:107], v[20:21], s[14:15]
	v_add_f64 v[130:131], v[62:63], v[58:59]
	v_add_f64 v[36:37], v[136:137], v[36:37]
	;; [unrolled: 1-line block ×4, first 2 shown]
	v_mul_f64 v[158:159], v[16:17], s[56:57]
	v_fma_f64 v[114:115], v[134:135], s[24:25], v[138:139]
	v_fma_f64 v[118:119], v[134:135], s[24:25], -v[138:139]
	v_mul_f64 v[136:137], v[126:127], s[20:21]
	v_add_f64 v[104:105], v[128:129], v[104:105]
	v_add_f64 v[128:129], v[52:53], -v[54:55]
	v_add_f64 v[116:117], v[140:141], v[116:117]
	v_fma_f64 v[138:139], v[134:135], s[36:37], v[142:143]
	v_fma_f64 v[140:141], v[134:135], s[36:37], -v[142:143]
	v_add_f64 v[22:23], v[110:111], v[22:23]
	v_mul_f64 v[110:111], v[126:127], s[14:15]
	v_fma_f64 v[142:143], v[134:135], s[6:7], v[144:145]
	v_fma_f64 v[144:145], v[134:135], s[6:7], -v[144:145]
	v_add_f64 v[24:25], v[112:113], v[24:25]
	v_mul_f64 v[146:147], v[126:127], s[54:55]
	v_mul_f64 v[148:149], v[126:127], s[22:23]
	v_add_f64 v[112:113], v[124:125], v[66:67]
	v_add_f64 v[124:125], v[56:57], v[60:61]
	v_mul_f64 v[164:165], v[16:17], s[26:27]
	v_mul_f64 v[166:167], v[10:11], s[28:29]
	v_add_f64 v[108:109], v[132:133], v[108:109]
	v_fma_f64 v[132:133], v[134:135], s[30:31], v[106:107]
	v_fma_f64 v[106:107], v[134:135], s[30:31], -v[106:107]
	v_add_f64 v[36:37], v[114:115], v[36:37]
	v_add_f64 v[30:31], v[118:119], v[30:31]
	v_fma_f64 v[114:115], v[130:131], s[10:11], v[136:137]
	v_mul_f64 v[118:119], v[8:9], s[38:39]
	v_mul_f64 v[150:151], v[128:129], s[18:19]
	v_fma_f64 v[136:137], v[130:131], s[10:11], -v[136:137]
	v_add_f64 v[102:103], v[138:139], v[102:103]
	v_add_f64 v[104:105], v[140:141], v[104:105]
	v_mul_f64 v[140:141], v[8:9], s[52:53]
	v_fma_f64 v[138:139], v[130:131], s[30:31], v[110:111]
	v_fma_f64 v[110:111], v[130:131], s[30:31], -v[110:111]
	v_add_f64 v[116:117], v[142:143], v[116:117]
	v_add_f64 v[22:23], v[144:145], v[22:23]
	v_fma_f64 v[142:143], v[130:131], s[50:51], v[146:147]
	v_fma_f64 v[144:145], v[130:131], s[50:51], -v[146:147]
	v_add_f64 v[112:113], v[112:113], v[62:63]
	v_fma_f64 v[146:147], v[130:131], s[6:7], -v[148:149]
	v_mul_f64 v[160:161], v[128:129], s[46:47]
	v_add_f64 v[108:109], v[132:133], v[108:109]
	v_fma_f64 v[132:133], v[130:131], s[6:7], v[148:149]
	v_add_f64 v[24:25], v[106:107], v[24:25]
	v_mul_f64 v[148:149], v[8:9], s[54:55]
	v_add_f64 v[36:37], v[114:115], v[36:37]
	v_fma_f64 v[154:155], v[2:3], s[6:7], v[118:119]
	v_fma_f64 v[114:115], v[124:125], s[4:5], v[150:151]
	v_add_f64 v[30:31], v[136:137], v[30:31]
	v_mul_f64 v[136:137], v[6:7], s[26:27]
	v_mul_f64 v[8:9], v[8:9], s[46:47]
	;; [unrolled: 1-line block ×3, first 2 shown]
	v_add_f64 v[102:103], v[138:139], v[102:103]
	v_add_f64 v[104:105], v[110:111], v[104:105]
	v_fma_f64 v[110:111], v[2:3], s[6:7], -v[118:119]
	v_fma_f64 v[118:119], v[2:3], s[10:11], v[140:141]
	v_fma_f64 v[138:139], v[124:125], s[4:5], -v[150:151]
	v_add_f64 v[22:23], v[144:145], v[22:23]
	v_add_f64 v[112:113], v[112:113], v[56:57]
	v_mul_f64 v[144:145], v[6:7], s[38:39]
	v_mul_f64 v[6:7], v[6:7], s[54:55]
	v_add_f64 v[116:117], v[142:143], v[116:117]
	v_add_f64 v[108:109], v[132:133], v[108:109]
	;; [unrolled: 1-line block ×3, first 2 shown]
	v_fma_f64 v[146:147], v[14:15], s[30:31], v[152:153]
	v_mul_f64 v[132:133], v[128:129], s[14:15]
	v_add_f64 v[150:151], v[4:5], v[154:155]
	v_add_f64 v[36:37], v[114:115], v[36:37]
	v_fma_f64 v[114:115], v[2:3], s[10:11], -v[140:141]
	v_fma_f64 v[140:141], v[2:3], s[50:51], v[148:149]
	v_fma_f64 v[148:149], v[2:3], s[50:51], -v[148:149]
	v_mul_f64 v[154:155], v[16:17], s[40:41]
	v_fma_f64 v[156:157], v[14:15], s[24:25], v[136:137]
	v_fma_f64 v[162:163], v[2:3], s[36:37], -v[8:9]
	v_fma_f64 v[2:3], v[2:3], s[36:37], v[8:9]
	v_add_f64 v[118:119], v[4:5], v[118:119]
	v_fma_f64 v[142:143], v[124:125], s[50:51], v[106:107]
	v_fma_f64 v[152:153], v[14:15], s[30:31], -v[152:153]
	v_add_f64 v[112:113], v[112:113], v[42:43]
	v_add_f64 v[110:111], v[4:5], v[110:111]
	v_add_f64 v[8:9], v[138:139], v[30:31]
	v_fma_f64 v[136:137], v[14:15], s[24:25], -v[136:137]
	v_mul_f64 v[16:17], v[16:17], s[52:53]
	v_fma_f64 v[106:107], v[124:125], s[50:51], -v[106:107]
	v_fma_f64 v[30:31], v[124:125], s[30:31], v[132:133]
	v_add_f64 v[146:147], v[146:147], v[150:151]
	v_fma_f64 v[132:133], v[124:125], s[30:31], -v[132:133]
	v_add_f64 v[114:115], v[4:5], v[114:115]
	v_add_f64 v[138:139], v[4:5], v[140:141]
	v_fma_f64 v[140:141], v[14:15], s[6:7], v[144:145]
	v_fma_f64 v[144:145], v[14:15], s[6:7], -v[144:145]
	v_add_f64 v[148:149], v[4:5], v[148:149]
	v_fma_f64 v[150:151], v[12:13], s[4:5], v[154:155]
	v_add_f64 v[162:163], v[4:5], v[162:163]
	v_add_f64 v[118:119], v[156:157], v[118:119]
	v_fma_f64 v[156:157], v[14:15], s[50:51], -v[6:7]
	v_add_f64 v[2:3], v[4:5], v[2:3]
	v_add_f64 v[112:113], v[112:113], v[40:41]
	v_fma_f64 v[4:5], v[14:15], s[50:51], v[6:7]
	v_add_f64 v[110:111], v[152:153], v[110:111]
	v_fma_f64 v[152:153], v[12:13], s[4:5], -v[154:155]
	v_fma_f64 v[154:155], v[12:13], s[30:31], v[158:159]
	v_add_f64 v[6:7], v[142:143], v[102:103]
	v_mul_f64 v[14:15], v[10:11], s[40:41]
	v_add_f64 v[104:105], v[106:107], v[104:105]
	v_fma_f64 v[106:107], v[124:125], s[36:37], v[160:161]
	v_add_f64 v[30:31], v[30:31], v[116:117]
	v_add_f64 v[22:23], v[132:133], v[22:23]
	;; [unrolled: 1-line block ×3, first 2 shown]
	v_fma_f64 v[114:115], v[12:13], s[30:31], -v[158:159]
	v_add_f64 v[136:137], v[140:141], v[138:139]
	v_fma_f64 v[138:139], v[12:13], s[24:25], v[164:165]
	v_mul_f64 v[140:141], v[10:11], s[14:15]
	v_add_f64 v[142:143], v[144:145], v[148:149]
	v_fma_f64 v[144:145], v[12:13], s[24:25], -v[164:165]
	v_add_f64 v[146:147], v[150:151], v[146:147]
	v_fma_f64 v[148:149], v[18:19], s[36:37], v[166:167]
	v_fma_f64 v[158:159], v[12:13], s[10:11], -v[16:17]
	v_mul_f64 v[10:11], v[10:11], s[38:39]
	v_add_f64 v[156:157], v[156:157], v[162:163]
	v_add_f64 v[112:113], v[112:113], v[60:61]
	;; [unrolled: 1-line block ×3, first 2 shown]
	v_fma_f64 v[4:5], v[12:13], s[10:11], v[16:17]
	v_mul_f64 v[150:151], v[20:21], s[52:53]
	v_add_f64 v[110:111], v[152:153], v[110:111]
	v_fma_f64 v[152:153], v[18:19], s[36:37], -v[166:167]
	v_add_f64 v[118:119], v[154:155], v[118:119]
	v_fma_f64 v[12:13], v[18:19], s[4:5], v[14:15]
	v_mul_f64 v[16:17], v[20:21], s[42:43]
	v_fma_f64 v[14:15], v[18:19], s[4:5], -v[14:15]
	v_add_f64 v[106:107], v[106:107], v[108:109]
	v_add_f64 v[102:103], v[114:115], v[102:103]
	v_add_f64 v[108:109], v[32:33], -v[38:39]
	v_add_f64 v[114:115], v[138:139], v[136:137]
	v_fma_f64 v[136:137], v[18:19], s[30:31], v[140:141]
	v_mul_f64 v[138:139], v[20:21], s[44:45]
	v_add_f64 v[142:143], v[144:145], v[142:143]
	v_fma_f64 v[140:141], v[18:19], s[30:31], -v[140:141]
	v_add_f64 v[116:117], v[148:149], v[146:147]
	v_mul_f64 v[20:21], v[20:21], s[18:19]
	v_fma_f64 v[148:149], v[18:19], s[6:7], -v[10:11]
	v_add_f64 v[154:155], v[158:159], v[156:157]
	v_add_f64 v[112:113], v[112:113], v[58:59]
	v_fma_f64 v[144:145], v[124:125], s[36:37], -v[160:161]
	v_add_f64 v[2:3], v[4:5], v[2:3]
	v_fma_f64 v[4:5], v[18:19], s[6:7], v[10:11]
	v_fma_f64 v[132:133], v[134:135], s[10:11], v[150:151]
	v_mul_f64 v[146:147], v[126:127], s[16:17]
	v_add_f64 v[110:111], v[152:153], v[110:111]
	v_fma_f64 v[150:151], v[134:135], s[10:11], -v[150:151]
	v_add_f64 v[10:11], v[12:13], v[118:119]
	v_fma_f64 v[12:13], v[134:135], s[50:51], v[16:17]
	v_mul_f64 v[18:19], v[126:127], s[46:47]
	v_add_f64 v[14:15], v[14:15], v[102:103]
	v_fma_f64 v[16:17], v[134:135], s[50:51], -v[16:17]
	v_add_f64 v[102:103], v[136:137], v[114:115]
	v_fma_f64 v[114:115], v[134:135], s[34:35], v[138:139]
	v_mul_f64 v[136:137], v[126:127], s[40:41]
	v_add_f64 v[118:119], v[140:141], v[142:143]
	v_fma_f64 v[138:139], v[134:135], s[34:35], -v[138:139]
	v_fma_f64 v[140:141], v[134:135], s[4:5], -v[20:21]
	v_mul_f64 v[126:127], v[126:127], s[26:27]
	v_add_f64 v[142:143], v[148:149], v[154:155]
	v_add_f64 v[112:113], v[112:113], v[68:69]
	v_mul_f64 v[148:149], v[128:129], s[48:49]
	v_add_f64 v[2:3], v[4:5], v[2:3]
	v_fma_f64 v[4:5], v[134:135], s[4:5], v[20:21]
	v_add_f64 v[116:117], v[132:133], v[116:117]
	v_fma_f64 v[132:133], v[130:131], s[34:35], v[146:147]
	v_add_f64 v[110:111], v[150:151], v[110:111]
	v_fma_f64 v[146:147], v[130:131], s[34:35], -v[146:147]
	v_add_f64 v[10:11], v[12:13], v[10:11]
	v_fma_f64 v[12:13], v[130:131], s[36:37], v[18:19]
	v_mul_f64 v[20:21], v[128:129], s[38:39]
	v_add_f64 v[14:15], v[16:17], v[14:15]
	v_fma_f64 v[16:17], v[130:131], s[36:37], -v[18:19]
	v_add_f64 v[18:19], v[144:145], v[24:25]
	v_add_f64 v[24:25], v[114:115], v[102:103]
	v_fma_f64 v[102:103], v[130:131], s[4:5], v[136:137]
	v_fma_f64 v[134:135], v[130:131], s[4:5], -v[136:137]
	v_add_f64 v[114:115], v[138:139], v[118:119]
	v_mul_f64 v[118:119], v[128:129], s[20:21]
	v_mul_f64 v[128:129], v[128:129], s[16:17]
	v_fma_f64 v[144:145], v[130:131], s[24:25], -v[126:127]
	v_add_f64 v[140:141], v[140:141], v[142:143]
	v_add_f64 v[112:113], v[112:113], v[74:75]
	;; [unrolled: 1-line block ×3, first 2 shown]
	v_mul_f64 v[138:139], v[108:109], s[22:23]
	v_add_f64 v[2:3], v[4:5], v[2:3]
	v_fma_f64 v[4:5], v[130:131], s[24:25], v[126:127]
	v_add_f64 v[116:117], v[132:133], v[116:117]
	v_fma_f64 v[132:133], v[124:125], s[24:25], v[148:149]
	v_add_f64 v[110:111], v[146:147], v[110:111]
	v_fma_f64 v[126:127], v[124:125], s[24:25], -v[148:149]
	v_add_f64 v[10:11], v[12:13], v[10:11]
	v_fma_f64 v[12:13], v[124:125], s[6:7], v[20:21]
	v_fma_f64 v[20:21], v[124:125], s[6:7], -v[20:21]
	v_add_f64 v[14:15], v[16:17], v[14:15]
	v_mul_f64 v[16:17], v[108:109], s[20:21]
	v_mul_f64 v[148:149], v[108:109], s[14:15]
	v_add_f64 v[24:25], v[102:103], v[24:25]
	v_mul_f64 v[102:103], v[108:109], s[26:27]
	v_add_f64 v[114:115], v[134:135], v[114:115]
	v_fma_f64 v[130:131], v[124:125], s[10:11], v[118:119]
	v_fma_f64 v[134:135], v[124:125], s[34:35], -v[128:129]
	v_fma_f64 v[118:119], v[124:125], s[10:11], -v[118:119]
	v_add_f64 v[140:141], v[144:145], v[140:141]
	v_add_f64 v[112:113], v[112:113], v[80:81]
	v_mul_f64 v[146:147], v[108:109], s[16:17]
	v_mul_f64 v[144:145], v[108:109], s[28:29]
	;; [unrolled: 1-line block ×4, first 2 shown]
	v_add_f64 v[2:3], v[4:5], v[2:3]
	v_fma_f64 v[4:5], v[124:125], s[34:35], v[128:129]
	v_add_f64 v[116:117], v[132:133], v[116:117]
	v_add_f64 v[110:111], v[126:127], v[110:111]
	v_fma_f64 v[150:151], v[136:137], s[6:7], v[138:139]
	v_add_f64 v[10:11], v[12:13], v[10:11]
	v_fma_f64 v[138:139], v[136:137], s[6:7], -v[138:139]
	v_add_f64 v[12:13], v[20:21], v[14:15]
	v_fma_f64 v[14:15], v[136:137], s[10:11], v[16:17]
	v_fma_f64 v[16:17], v[136:137], s[10:11], -v[16:17]
	v_fma_f64 v[126:127], v[136:137], s[30:31], -v[148:149]
	v_add_f64 v[20:21], v[130:131], v[24:25]
	v_fma_f64 v[24:25], v[136:137], s[24:25], v[102:103]
	v_fma_f64 v[102:103], v[136:137], s[24:25], -v[102:103]
	v_add_f64 v[128:129], v[134:135], v[140:141]
	v_add_f64 v[112:113], v[112:113], v[86:87]
	;; [unrolled: 1-line block ×3, first 2 shown]
	v_fma_f64 v[118:119], v[136:137], s[34:35], -v[146:147]
	v_fma_f64 v[130:131], v[136:137], s[36:37], -v[144:145]
	;; [unrolled: 1-line block ×4, first 2 shown]
	v_fma_f64 v[152:153], v[136:137], s[4:5], v[142:143]
	v_fma_f64 v[108:109], v[136:137], s[50:51], v[108:109]
	;; [unrolled: 1-line block ×4, first 2 shown]
	v_add_f64 v[2:3], v[4:5], v[2:3]
	v_fma_f64 v[4:5], v[136:137], s[30:31], v[148:149]
	v_add_f64 v[36:37], v[150:151], v[36:37]
	v_add_f64 v[14:15], v[14:15], v[30:31]
	;; [unrolled: 1-line block ×16, first 2 shown]
	v_mov_b32_e32 v110, 0x198
	v_mov_b32_e32 v111, 3
	v_add_f64 v[2:3], v[4:5], v[2:3]
	v_mul_u32_u24_sdwa v4, v91, v110 dst_sel:DWORD dst_unused:UNUSED_PAD src0_sel:WORD_0 src1_sel:DWORD
	v_lshlrev_b32_sdwa v5, v111, v96 dst_sel:DWORD dst_unused:UNUSED_PAD src0_sel:DWORD src1_sel:BYTE_0
	v_add3_u32 v4, 0, v4, v5
	ds_write2_b64 v4, v[30:31], v[24:25] offset1:3
	ds_write2_b64 v4, v[102:103], v[12:13] offset0:6 offset1:9
	ds_write2_b64 v4, v[106:107], v[18:19] offset0:12 offset1:15
	;; [unrolled: 1-line block ×7, first 2 shown]
	ds_write_b64 v4, v[2:3] offset:384
.LBB0_25:
	s_or_b32 exec_lo, exec_lo, s1
	v_add_nc_u32_e32 v126, 0x800, v123
	v_add_nc_u32_e32 v127, 0xc00, v123
	;; [unrolled: 1-line block ×3, first 2 shown]
	v_lshl_add_u32 v124, v95, 3, 0
	v_lshl_add_u32 v125, v94, 3, 0
	s_waitcnt lgkmcnt(0)
	s_barrier
	buffer_gl0_inv
	ds_read2_b64 v[2:5], v123 offset1:153
	ds_read2_b64 v[14:17], v123 offset0:204 offset1:255
	ds_read2_b64 v[6:9], v126 offset0:50 offset1:101
	;; [unrolled: 1-line block ×5, first 2 shown]
	ds_read_b64 v[36:37], v124
	ds_read_b64 v[30:31], v125
	s_waitcnt lgkmcnt(0)
	s_barrier
	buffer_gl0_inv
	s_and_saveexec_b32 s33, s0
	s_cbranch_execz .LBB0_27
; %bb.26:
	v_add_f64 v[102:103], v[0:1], v[98:99]
	v_add_f64 v[88:89], v[88:89], -v[100:101]
	s_mov_b32 s18, 0x5d8e7cdc
	s_mov_b32 s34, 0x2a9d6da3
	s_mov_b32 s38, 0x7c9e640b
	s_mov_b32 s36, 0xeb564b22
	s_mov_b32 s16, 0x923c349f
	s_mov_b32 s20, 0x6c9a05f6
	s_mov_b32 s26, 0x4363dd80
	s_mov_b32 s30, 0xacd6c6b4
	s_mov_b32 s19, 0xbfd71e95
	s_mov_b32 s35, 0xbfe58eea
	s_mov_b32 s39, 0xbfeca52d
	s_mov_b32 s37, 0xbfefdd0d
	s_mov_b32 s17, 0xbfeec746
	s_mov_b32 s21, 0xbfe9895b
	s_mov_b32 s27, 0xbfe0d888
	s_mov_b32 s31, 0xbfc7851a
	v_add_f64 v[98:99], v[98:99], v[26:27]
	v_add_f64 v[129:130], v[84:85], -v[86:87]
	s_mov_b32 s22, 0x6ed5f1bb
	s_mov_b32 s23, 0xbfe348c8
	v_add_f64 v[100:101], v[102:103], v[82:83]
	v_mul_f64 v[102:103], v[88:89], s[18:19]
	v_mul_f64 v[104:105], v[88:89], s[34:35]
	v_mul_f64 v[106:107], v[88:89], s[38:39]
	v_mul_f64 v[108:109], v[88:89], s[36:37]
	v_mul_f64 v[110:111], v[88:89], s[16:17]
	v_mul_f64 v[112:113], v[88:89], s[20:21]
	v_mul_f64 v[84:85], v[88:89], s[26:27]
	v_mul_f64 v[86:87], v[88:89], s[30:31]
	s_mov_b32 s24, 0x910ea3b9
	s_mov_b32 s25, 0xbfeb34fa
	;; [unrolled: 1-line block ×12, first 2 shown]
	v_add_f64 v[131:132], v[82:83], v[28:29]
	v_add_f64 v[88:89], v[100:101], v[76:77]
	v_fma_f64 v[100:101], v[98:99], s[0:1], v[102:103]
	v_fma_f64 v[102:103], v[98:99], s[0:1], -v[102:103]
	v_fma_f64 v[116:117], v[98:99], s[4:5], v[104:105]
	v_fma_f64 v[82:83], v[98:99], s[4:5], -v[104:105]
	;; [unrolled: 2-line block ×4, first 2 shown]
	v_fma_f64 v[106:107], v[98:99], s[6:7], -v[106:107]
	v_fma_f64 v[118:119], v[98:99], s[10:11], v[108:109]
	v_fma_f64 v[135:136], v[98:99], s[14:15], v[110:111]
	;; [unrolled: 1-line block ×3, first 2 shown]
	v_mul_f64 v[143:144], v[129:130], s[34:35]
	v_add_f64 v[72:73], v[72:73], -v[74:75]
	s_mov_b32 s28, 0x7faef3
	s_mov_b32 s29, 0xbfef7484
	v_add_f64 v[78:79], v[78:79], -v[80:81]
	s_mov_b32 s49, 0x3fe0d888
	s_mov_b32 s48, s26
	;; [unrolled: 1-line block ×4, first 2 shown]
	v_add_f64 v[153:154], v[88:89], v[70:71]
	s_mov_b32 s41, 0x3feca52d
	s_mov_b32 s40, s38
	;; [unrolled: 1-line block ×4, first 2 shown]
	v_fma_f64 v[133:134], v[98:99], s[10:11], -v[108:109]
	v_add_f64 v[84:85], v[0:1], v[141:142]
	v_fma_f64 v[137:138], v[98:99], s[14:15], -v[110:111]
	v_mul_f64 v[147:148], v[129:130], s[36:37]
	v_fma_f64 v[151:152], v[98:99], s[28:29], v[86:87]
	v_add_f64 v[112:113], v[0:1], v[102:103]
	v_add_f64 v[108:109], v[0:1], v[116:117]
	v_fma_f64 v[155:156], v[98:99], s[28:29], -v[86:87]
	v_add_f64 v[110:111], v[0:1], v[82:83]
	v_add_f64 v[102:103], v[0:1], v[104:105]
	;; [unrolled: 1-line block ×6, first 2 shown]
	v_fma_f64 v[118:119], v[131:132], s[4:5], v[143:144]
	v_add_f64 v[82:83], v[0:1], v[145:146]
	v_fma_f64 v[116:117], v[131:132], s[4:5], -v[143:144]
	v_add_f64 v[141:142], v[153:154], v[64:65]
	v_mul_f64 v[80:81], v[129:130], s[20:21]
	v_mul_f64 v[135:136], v[129:130], s[30:31]
	;; [unrolled: 1-line block ×6, first 2 shown]
	s_mov_b32 s45, 0x3fc7851a
	s_mov_b32 s44, s30
	;; [unrolled: 1-line block ×4, first 2 shown]
	v_add_f64 v[114:115], v[0:1], v[100:101]
	v_add_f64 v[100:101], v[0:1], v[133:134]
	;; [unrolled: 1-line block ×3, first 2 shown]
	v_fma_f64 v[133:134], v[131:132], s[10:11], v[147:148]
	v_fma_f64 v[137:138], v[131:132], s[10:11], -v[147:148]
	v_add_f64 v[147:148], v[0:1], v[149:150]
	v_add_f64 v[149:150], v[0:1], v[151:152]
	;; [unrolled: 1-line block ×4, first 2 shown]
	v_mul_f64 v[151:152], v[78:79], s[38:39]
	v_mul_f64 v[155:156], v[78:79], s[20:21]
	v_add_f64 v[74:75], v[141:142], v[50:51]
	v_mul_f64 v[141:142], v[78:79], s[44:45]
	s_mov_b32 s45, 0x3fe58eea
	s_mov_b32 s44, s34
	v_fma_f64 v[153:154], v[131:132], s[22:23], v[80:81]
	v_fma_f64 v[80:81], v[131:132], s[22:23], -v[80:81]
	v_fma_f64 v[157:158], v[131:132], s[28:29], v[135:136]
	v_fma_f64 v[135:136], v[131:132], s[28:29], -v[135:136]
	;; [unrolled: 2-line block ×3, first 2 shown]
	v_fma_f64 v[161:162], v[131:132], s[14:15], v[143:144]
	v_mul_f64 v[163:164], v[78:79], s[46:47]
	v_fma_f64 v[143:144], v[131:132], s[14:15], -v[143:144]
	v_fma_f64 v[165:166], v[131:132], s[6:7], v[145:146]
	v_fma_f64 v[145:146], v[131:132], s[6:7], -v[145:146]
	v_fma_f64 v[167:168], v[131:132], s[0:1], v[129:130]
	v_fma_f64 v[129:130], v[131:132], s[0:1], -v[129:130]
	v_mul_f64 v[131:132], v[78:79], s[44:45]
	v_mul_f64 v[171:172], v[78:79], s[18:19]
	;; [unrolled: 1-line block ×4, first 2 shown]
	v_add_f64 v[70:71], v[70:71], v[44:45]
	v_add_f64 v[74:75], v[74:75], v[52:53]
	v_mul_f64 v[177:178], v[72:73], s[36:37]
	v_mul_f64 v[181:182], v[72:73], s[30:31]
	;; [unrolled: 1-line block ×7, first 2 shown]
	v_add_f64 v[66:67], v[66:67], -v[68:69]
	v_mul_f64 v[68:69], v[72:73], s[44:45]
	v_fma_f64 v[169:170], v[76:77], s[6:7], v[151:152]
	v_fma_f64 v[151:152], v[76:77], s[6:7], -v[151:152]
	v_fma_f64 v[173:174], v[76:77], s[22:23], v[155:156]
	v_fma_f64 v[155:156], v[76:77], s[22:23], -v[155:156]
	;; [unrolled: 2-line block ×6, first 2 shown]
	v_add_f64 v[74:75], v[74:75], v[32:33]
	v_fma_f64 v[197:198], v[76:77], s[10:11], v[175:176]
	v_fma_f64 v[175:176], v[76:77], s[10:11], -v[175:176]
	v_fma_f64 v[199:200], v[76:77], s[24:25], v[78:79]
	v_fma_f64 v[76:77], v[76:77], s[24:25], -v[78:79]
	;; [unrolled: 2-line block ×10, first 2 shown]
	v_add_f64 v[52:53], v[52:53], v[54:55]
	v_add_f64 v[70:71], v[74:75], v[38:39]
	v_mul_f64 v[215:216], v[66:67], s[48:49]
	s_mov_b32 s49, 0x3fefdd0d
	s_mov_b32 s48, s36
	v_add_f64 v[64:65], v[64:65], v[46:47]
	v_mul_f64 v[211:212], v[66:67], s[16:17]
	v_mul_f64 v[74:75], v[66:67], s[44:45]
	;; [unrolled: 1-line block ×4, first 2 shown]
	v_add_f64 v[58:59], v[62:63], -v[58:59]
	v_mul_f64 v[62:63], v[66:67], s[48:49]
	v_add_f64 v[56:57], v[56:57], -v[60:61]
	v_mul_f64 v[60:61], v[66:67], s[18:19]
	v_mul_f64 v[66:67], v[66:67], s[20:21]
	v_add_f64 v[114:115], v[118:119], v[114:115]
	v_add_f64 v[112:113], v[116:117], v[112:113]
	;; [unrolled: 1-line block ×12, first 2 shown]
	v_fma_f64 v[116:117], v[64:65], s[24:25], v[215:216]
	v_fma_f64 v[118:119], v[64:65], s[14:15], v[211:212]
	v_fma_f64 v[211:212], v[64:65], s[14:15], -v[211:212]
	v_fma_f64 v[215:216], v[64:65], s[24:25], -v[215:216]
	v_fma_f64 v[70:71], v[64:65], s[4:5], v[74:75]
	v_fma_f64 v[74:75], v[64:65], s[4:5], -v[74:75]
	v_fma_f64 v[133:134], v[64:65], s[6:7], v[219:220]
	;; [unrolled: 2-line block ×6, first 2 shown]
	v_fma_f64 v[64:65], v[64:65], s[22:23], -v[66:67]
	v_add_f64 v[66:67], v[153:154], v[102:103]
	v_add_f64 v[102:103], v[157:158], v[106:107]
	;; [unrolled: 1-line block ×17, first 2 shown]
	v_mul_f64 v[104:105], v[58:59], s[20:21]
	v_mul_f64 v[106:107], v[58:59], s[46:47]
	;; [unrolled: 1-line block ×5, first 2 shown]
	v_add_f64 v[66:67], v[179:180], v[66:67]
	v_add_f64 v[102:103], v[185:186], v[102:103]
	;; [unrolled: 1-line block ×13, first 2 shown]
	v_mul_f64 v[135:136], v[58:59], s[18:19]
	v_mul_f64 v[143:144], v[58:59], s[30:31]
	;; [unrolled: 1-line block ×3, first 2 shown]
	v_add_f64 v[110:111], v[181:182], v[110:111]
	v_add_f64 v[82:83], v[213:214], v[82:83]
	;; [unrolled: 1-line block ×3, first 2 shown]
	v_mul_f64 v[157:158], v[56:57], s[26:27]
	v_fma_f64 v[129:130], v[50:51], s[22:23], v[104:105]
	v_fma_f64 v[48:49], v[50:51], s[22:23], -v[104:105]
	v_add_f64 v[66:67], v[203:204], v[66:67]
	v_add_f64 v[102:103], v[205:206], v[102:103]
	;; [unrolled: 1-line block ×3, first 2 shown]
	v_fma_f64 v[104:105], v[50:51], s[14:15], v[106:107]
	v_add_f64 v[0:1], v[68:69], v[0:1]
	v_add_f64 v[68:69], v[118:119], v[76:77]
	;; [unrolled: 1-line block ×4, first 2 shown]
	v_fma_f64 v[46:47], v[50:51], s[24:25], v[54:55]
	v_fma_f64 v[112:113], v[50:51], s[10:11], v[139:140]
	v_add_f64 v[100:101], v[187:188], v[100:101]
	v_add_f64 v[72:73], v[189:190], v[72:73]
	;; [unrolled: 1-line block ×6, first 2 shown]
	v_mul_f64 v[147:148], v[56:57], s[40:41]
	v_add_f64 v[62:63], v[62:63], v[84:85]
	v_mul_f64 v[159:160], v[56:57], s[36:37]
	v_fma_f64 v[106:107], v[50:51], s[14:15], -v[106:107]
	v_fma_f64 v[141:142], v[50:51], s[0:1], v[135:136]
	v_add_f64 v[108:109], v[215:216], v[110:111]
	v_add_f64 v[66:67], v[70:71], v[66:67]
	;; [unrolled: 1-line block ×4, first 2 shown]
	v_fma_f64 v[44:45], v[50:51], s[4:5], -v[153:154]
	v_fma_f64 v[70:71], v[50:51], s[28:29], v[143:144]
	v_fma_f64 v[110:111], v[50:51], s[6:7], v[58:59]
	v_add_f64 v[82:83], v[225:226], v[82:83]
	v_add_f64 v[84:85], v[227:228], v[131:132]
	v_fma_f64 v[135:136], v[50:51], s[0:1], -v[135:136]
	v_fma_f64 v[54:55], v[50:51], s[24:25], -v[54:55]
	;; [unrolled: 1-line block ×3, first 2 shown]
	v_fma_f64 v[139:140], v[50:51], s[4:5], v[153:154]
	v_fma_f64 v[102:103], v[50:51], s[28:29], -v[143:144]
	v_fma_f64 v[50:51], v[50:51], s[6:7], -v[58:59]
	v_add_f64 v[0:1], v[64:65], v[0:1]
	v_add_f64 v[64:65], v[129:130], v[68:69]
	;; [unrolled: 1-line block ×3, first 2 shown]
	v_mul_f64 v[78:79], v[56:57], s[50:51]
	v_add_f64 v[100:101], v[137:138], v[100:101]
	v_add_f64 v[58:59], v[221:222], v[72:73]
	;; [unrolled: 1-line block ×4, first 2 shown]
	v_mul_f64 v[86:87], v[56:57], s[30:31]
	v_add_f64 v[46:47], v[46:47], v[80:81]
	v_add_f64 v[28:29], v[34:35], v[28:29]
	v_fma_f64 v[34:35], v[52:53], s[24:25], v[157:158]
	v_mul_f64 v[80:81], v[56:57], s[18:19]
	v_add_f64 v[88:89], v[112:113], v[98:99]
	v_mul_f64 v[98:99], v[56:57], s[44:45]
	v_mul_f64 v[56:57], v[56:57], s[16:17]
	v_add_f64 v[40:41], v[42:43], -v[40:41]
	v_add_f64 v[44:45], v[44:45], v[62:63]
	v_fma_f64 v[62:63], v[52:53], s[6:7], v[147:148]
	v_add_f64 v[48:49], v[48:49], v[76:77]
	v_add_f64 v[76:77], v[106:107], v[108:109]
	;; [unrolled: 1-line block ×4, first 2 shown]
	v_fma_f64 v[70:71], v[52:53], s[6:7], -v[147:148]
	v_add_f64 v[82:83], v[110:111], v[84:85]
	v_fma_f64 v[84:85], v[52:53], s[10:11], v[159:160]
	v_add_f64 v[74:75], v[135:136], v[74:75]
	v_add_f64 v[0:1], v[50:51], v[0:1]
	v_fma_f64 v[50:51], v[52:53], s[10:11], -v[159:160]
	v_add_f64 v[54:55], v[54:55], v[100:101]
	v_add_f64 v[60:61], v[102:103], v[60:61]
	v_fma_f64 v[100:101], v[52:53], s[24:25], -v[157:158]
	v_fma_f64 v[104:105], v[52:53], s[28:29], v[86:87]
	v_add_f64 v[34:35], v[34:35], v[64:65]
	v_fma_f64 v[64:65], v[52:53], s[22:23], v[78:79]
	v_fma_f64 v[78:79], v[52:53], s[22:23], -v[78:79]
	v_fma_f64 v[102:103], v[52:53], s[0:1], v[80:81]
	v_fma_f64 v[80:81], v[52:53], s[0:1], -v[80:81]
	v_fma_f64 v[86:87], v[52:53], s[28:29], -v[86:87]
	v_fma_f64 v[106:107], v[52:53], s[4:5], v[98:99]
	v_fma_f64 v[98:99], v[52:53], s[4:5], -v[98:99]
	v_fma_f64 v[108:109], v[52:53], s[14:15], v[56:57]
	v_fma_f64 v[52:53], v[52:53], s[14:15], -v[56:57]
	v_add_f64 v[32:33], v[32:33], v[38:39]
	v_mul_f64 v[38:39], v[40:41], s[30:31]
	v_add_f64 v[58:59], v[114:115], v[58:59]
	v_mul_f64 v[56:57], v[40:41], s[42:43]
	;; [unrolled: 2-line block ×5, first 2 shown]
	v_add_f64 v[72:73], v[139:140], v[72:73]
	v_add_f64 v[50:51], v[50:51], v[74:75]
	v_mul_f64 v[74:75], v[40:41], s[40:41]
	v_add_f64 v[46:47], v[64:65], v[46:47]
	v_mul_f64 v[64:65], v[40:41], s[16:17]
	v_mul_f64 v[40:41], v[40:41], s[48:49]
	v_add_f64 v[54:55], v[78:79], v[54:55]
	v_add_f64 v[44:45], v[86:87], v[44:45]
	;; [unrolled: 1-line block ×7, first 2 shown]
	v_fma_f64 v[52:53], v[32:33], s[28:29], v[38:39]
	v_add_f64 v[58:59], v[80:81], v[58:59]
	v_add_f64 v[80:81], v[108:109], v[82:83]
	v_fma_f64 v[82:83], v[32:33], s[0:1], v[56:57]
	v_fma_f64 v[86:87], v[32:33], s[24:25], v[68:69]
	v_fma_f64 v[56:57], v[32:33], s[0:1], -v[56:57]
	v_fma_f64 v[88:89], v[32:33], s[4:5], v[76:77]
	v_fma_f64 v[76:77], v[32:33], s[4:5], -v[76:77]
	v_fma_f64 v[98:99], v[32:33], s[22:23], v[84:85]
	v_add_f64 v[72:73], v[104:105], v[72:73]
	v_fma_f64 v[84:85], v[32:33], s[22:23], -v[84:85]
	v_fma_f64 v[102:103], v[32:33], s[6:7], v[74:75]
	v_fma_f64 v[74:75], v[32:33], s[6:7], -v[74:75]
	v_fma_f64 v[104:105], v[32:33], s[14:15], v[64:65]
	v_fma_f64 v[106:107], v[32:33], s[10:11], v[40:41]
	v_fma_f64 v[40:41], v[32:33], s[10:11], -v[40:41]
	v_fma_f64 v[64:65], v[32:33], s[14:15], -v[64:65]
	;; [unrolled: 1-line block ×4, first 2 shown]
	v_add_f64 v[26:27], v[28:29], v[26:27]
	v_add_f64 v[28:29], v[52:53], v[34:35]
	;; [unrolled: 1-line block ×16, first 2 shown]
	v_mov_b32_e32 v60, 0x198
	v_mov_b32_e32 v61, 3
	v_add_f64 v[32:33], v[32:33], v[48:49]
	v_mul_u32_u24_sdwa v48, v91, v60 dst_sel:DWORD dst_unused:UNUSED_PAD src0_sel:WORD_0 src1_sel:DWORD
	v_lshlrev_b32_sdwa v49, v61, v96 dst_sel:DWORD dst_unused:UNUSED_PAD src0_sel:DWORD src1_sel:BYTE_0
	v_add3_u32 v48, 0, v48, v49
	ds_write2_b64 v48, v[26:27], v[28:29] offset1:3
	ds_write2_b64 v48, v[34:35], v[52:53] offset0:6 offset1:9
	ds_write2_b64 v48, v[46:47], v[56:57] offset0:12 offset1:15
	;; [unrolled: 1-line block ×7, first 2 shown]
	ds_write_b64 v48, v[32:33] offset:384
.LBB0_27:
	s_or_b32 exec_lo, exec_lo, s33
	v_mul_u32_u24_e32 v0, 6, v90
	s_waitcnt lgkmcnt(0)
	s_barrier
	buffer_gl0_inv
	s_mov_b32 s10, 0x37e14327
	v_lshlrev_b32_e32 v0, 4, v0
	s_mov_b32 s0, 0x36b3c0b5
	s_mov_b32 s16, 0xe976ee23
	;; [unrolled: 1-line block ×4, first 2 shown]
	s_clause 0x5
	global_load_dwordx4 v[26:29], v0, s[8:9] offset:768
	global_load_dwordx4 v[38:41], v0, s[8:9] offset:784
	;; [unrolled: 1-line block ×6, first 2 shown]
	ds_read2_b64 v[58:61], v123 offset1:153
	ds_read2_b64 v[62:65], v123 offset0:204 offset1:255
	ds_read2_b64 v[66:69], v126 offset0:50 offset1:101
	;; [unrolled: 1-line block ×5, first 2 shown]
	ds_read_b64 v[0:1], v124
	ds_read_b64 v[33:34], v125
	s_mov_b32 s17, 0xbfe11646
	s_mov_b32 s4, 0x429ad128
	;; [unrolled: 1-line block ×15, first 2 shown]
	v_lshl_add_u32 v32, v97, 3, 0
	s_waitcnt vmcnt(0) lgkmcnt(0)
	s_barrier
	buffer_gl0_inv
	v_mul_f64 v[82:83], v[0:1], v[28:29]
	v_mul_f64 v[86:87], v[62:63], v[40:41]
	;; [unrolled: 1-line block ×22, first 2 shown]
	v_fma_f64 v[35:36], v[36:37], v[26:27], -v[82:83]
	v_fma_f64 v[14:15], v[14:15], v[38:39], -v[86:87]
	v_mul_f64 v[133:134], v[72:73], v[56:57]
	v_fma_f64 v[22:23], v[22:23], v[46:47], -v[102:103]
	v_fma_f64 v[18:19], v[18:19], v[50:51], -v[106:107]
	v_mul_f64 v[56:57], v[12:13], v[56:57]
	v_fma_f64 v[6:7], v[6:7], v[42:43], -v[98:99]
	v_fma_f64 v[10:11], v[10:11], v[54:55], -v[110:111]
	;; [unrolled: 1-line block ×6, first 2 shown]
	v_fma_f64 v[0:1], v[0:1], v[26:27], v[84:85]
	v_fma_f64 v[62:63], v[62:63], v[38:39], v[88:89]
	;; [unrolled: 1-line block ×10, first 2 shown]
	v_fma_f64 v[8:9], v[8:9], v[42:43], -v[131:132]
	v_fma_f64 v[41:42], v[68:69], v[42:43], v[44:45]
	v_fma_f64 v[12:13], v[12:13], v[54:55], -v[133:134]
	v_add_f64 v[45:46], v[35:36], v[22:23]
	v_add_f64 v[49:50], v[14:15], v[18:19]
	v_fma_f64 v[43:44], v[72:73], v[54:55], v[56:57]
	v_add_f64 v[14:15], v[14:15], -v[18:19]
	v_add_f64 v[18:19], v[6:7], v[10:11]
	v_add_f64 v[6:7], v[10:11], -v[6:7]
	v_add_f64 v[22:23], v[35:36], -v[22:23]
	v_add_f64 v[10:11], v[4:5], v[24:25]
	v_add_f64 v[55:56], v[16:17], v[20:21]
	v_add_f64 v[4:5], v[4:5], -v[24:25]
	v_add_f64 v[16:17], v[16:17], -v[20:21]
	v_add_f64 v[47:48], v[0:1], v[78:79]
	v_add_f64 v[51:52], v[62:63], v[74:75]
	v_add_f64 v[53:54], v[62:63], -v[74:75]
	v_add_f64 v[35:36], v[66:67], v[70:71]
	v_add_f64 v[60:61], v[70:71], -v[66:67]
	v_add_f64 v[0:1], v[0:1], -v[78:79]
	v_add_f64 v[62:63], v[26:27], v[28:29]
	v_add_f64 v[24:25], v[26:27], -v[28:29]
	v_add_f64 v[26:27], v[37:38], v[39:40]
	;; [unrolled: 2-line block ×5, first 2 shown]
	v_add_f64 v[43:44], v[49:50], -v[45:46]
	v_add_f64 v[45:46], v[45:46], -v[18:19]
	;; [unrolled: 1-line block ×3, first 2 shown]
	v_add_f64 v[66:67], v[6:7], v[14:15]
	v_add_f64 v[68:69], v[55:56], v[10:11]
	v_add_f64 v[78:79], v[55:56], -v[10:11]
	v_add_f64 v[72:73], v[6:7], -v[14:15]
	;; [unrolled: 1-line block ×3, first 2 shown]
	v_add_f64 v[41:42], v[51:52], v[47:48]
	v_add_f64 v[64:65], v[51:52], -v[47:48]
	v_add_f64 v[47:48], v[47:48], -v[35:36]
	v_add_f64 v[70:71], v[60:61], v[53:54]
	v_add_f64 v[74:75], v[60:61], -v[53:54]
	v_add_f64 v[53:54], v[53:54], -v[0:1]
	;; [unrolled: 1-line block ×3, first 2 shown]
	v_add_f64 v[76:77], v[26:27], v[62:63]
	v_add_f64 v[60:61], v[0:1], -v[60:61]
	v_add_f64 v[10:11], v[10:11], -v[28:29]
	;; [unrolled: 1-line block ×3, first 2 shown]
	v_add_f64 v[18:19], v[18:19], v[39:40]
	v_add_f64 v[82:83], v[8:9], v[16:17]
	;; [unrolled: 1-line block ×3, first 2 shown]
	v_add_f64 v[86:87], v[12:13], -v[20:21]
	v_add_f64 v[20:21], v[20:21], -v[24:25]
	;; [unrolled: 1-line block ×4, first 2 shown]
	v_add_f64 v[28:29], v[28:29], v[68:69]
	v_add_f64 v[26:27], v[37:38], -v[26:27]
	v_add_f64 v[84:85], v[8:9], -v[16:17]
	;; [unrolled: 1-line block ×3, first 2 shown]
	v_add_f64 v[35:36], v[35:36], v[41:42]
	v_mul_f64 v[41:42], v[45:46], s[10:11]
	v_mul_f64 v[45:46], v[47:48], s[10:11]
	v_add_f64 v[0:1], v[70:71], v[0:1]
	v_mul_f64 v[47:48], v[49:50], s[0:1]
	v_mul_f64 v[70:71], v[74:75], s[16:17]
	;; [unrolled: 1-line block ×3, first 2 shown]
	v_add_f64 v[37:38], v[37:38], v[76:77]
	v_add_f64 v[8:9], v[4:5], -v[8:9]
	v_add_f64 v[12:13], v[24:25], -v[12:13]
	v_mul_f64 v[10:11], v[10:11], s[10:11]
	v_add_f64 v[2:3], v[2:3], v[18:19]
	v_add_f64 v[4:5], v[82:83], v[4:5]
	;; [unrolled: 1-line block ×3, first 2 shown]
	v_mul_f64 v[39:40], v[86:87], s[16:17]
	v_mul_f64 v[76:77], v[20:21], s[4:5]
	v_add_f64 v[6:7], v[22:23], -v[6:7]
	v_add_f64 v[22:23], v[66:67], v[22:23]
	v_add_f64 v[82:83], v[30:31], v[28:29]
	v_mul_f64 v[30:31], v[55:56], s[0:1]
	v_mul_f64 v[66:67], v[51:52], s[0:1]
	;; [unrolled: 1-line block ×8, first 2 shown]
	v_add_f64 v[57:58], v[58:59], v[35:36]
	v_fma_f64 v[49:50], v[49:50], s[0:1], v[41:42]
	v_fma_f64 v[51:52], v[51:52], s[0:1], v[45:46]
	v_fma_f64 v[47:48], v[43:44], s[14:15], -v[47:48]
	v_fma_f64 v[41:42], v[43:44], s[20:21], -v[41:42]
	v_fma_f64 v[43:44], v[64:65], s[20:21], -v[45:46]
	v_fma_f64 v[45:46], v[60:61], s[22:23], v[70:71]
	v_add_f64 v[33:34], v[33:34], v[37:38]
	v_fma_f64 v[18:19], v[18:19], s[6:7], v[2:3]
	v_fma_f64 v[53:54], v[53:54], s[4:5], -v[70:71]
	v_fma_f64 v[59:60], v[60:61], s[24:25], -v[74:75]
	v_fma_f64 v[55:56], v[55:56], s[0:1], v[10:11]
	v_fma_f64 v[70:71], v[12:13], s[22:23], v[39:40]
	v_fma_f64 v[20:21], v[20:21], s[4:5], -v[39:40]
	v_fma_f64 v[12:13], v[12:13], s[24:25], -v[76:77]
	v_fma_f64 v[28:29], v[28:29], s[6:7], v[82:83]
	v_fma_f64 v[10:11], v[78:79], s[20:21], -v[10:11]
	v_fma_f64 v[30:31], v[78:79], s[14:15], -v[30:31]
	;; [unrolled: 1-line block ×3, first 2 shown]
	v_fma_f64 v[64:65], v[6:7], s[22:23], v[68:69]
	v_fma_f64 v[14:15], v[14:15], s[4:5], -v[68:69]
	v_fma_f64 v[6:7], v[6:7], s[24:25], -v[72:73]
	v_fma_f64 v[26:27], v[26:27], s[0:1], v[62:63]
	v_fma_f64 v[39:40], v[80:81], s[14:15], -v[86:87]
	v_fma_f64 v[68:69], v[8:9], s[22:23], v[84:85]
	;; [unrolled: 2-line block ×3, first 2 shown]
	v_fma_f64 v[61:62], v[80:81], s[20:21], -v[62:63]
	v_fma_f64 v[8:9], v[8:9], s[24:25], -v[88:89]
	v_fma_f64 v[45:46], v[0:1], s[18:19], v[45:46]
	v_fma_f64 v[37:38], v[37:38], s[6:7], v[33:34]
	v_add_f64 v[49:50], v[49:50], v[18:19]
	v_fma_f64 v[53:54], v[0:1], s[18:19], v[53:54]
	v_fma_f64 v[0:1], v[0:1], s[18:19], v[59:60]
	v_add_f64 v[41:42], v[41:42], v[18:19]
	v_add_f64 v[18:19], v[47:48], v[18:19]
	v_fma_f64 v[47:48], v[24:25], s[18:19], v[70:71]
	v_fma_f64 v[20:21], v[24:25], s[18:19], v[20:21]
	;; [unrolled: 1-line block ×3, first 2 shown]
	v_add_f64 v[24:25], v[55:56], v[28:29]
	v_add_f64 v[10:11], v[10:11], v[28:29]
	;; [unrolled: 1-line block ×3, first 2 shown]
	v_fma_f64 v[55:56], v[22:23], s[18:19], v[64:65]
	v_fma_f64 v[14:15], v[22:23], s[18:19], v[14:15]
	;; [unrolled: 1-line block ×3, first 2 shown]
	v_add_nc_u32_e32 v30, 0x400, v123
	v_fma_f64 v[22:23], v[4:5], s[18:19], v[68:69]
	v_fma_f64 v[16:17], v[4:5], s[18:19], v[16:17]
	v_add_f64 v[51:52], v[51:52], v[35:36]
	v_add_f64 v[43:44], v[43:44], v[35:36]
	;; [unrolled: 1-line block ×3, first 2 shown]
	v_fma_f64 v[4:5], v[4:5], s[18:19], v[8:9]
	v_add_f64 v[8:9], v[26:27], v[37:38]
	v_add_f64 v[26:27], v[39:40], v[37:38]
	;; [unrolled: 1-line block ×5, first 2 shown]
	v_add_f64 v[61:62], v[18:19], -v[53:54]
	v_add_f64 v[18:19], v[53:54], v[18:19]
	v_add_f64 v[0:1], v[41:42], -v[0:1]
	v_add_f64 v[41:42], v[49:50], -v[45:46]
	v_add_f64 v[45:46], v[47:48], v[24:25]
	v_add_f64 v[49:50], v[12:13], v[10:11]
	v_add_f64 v[53:54], v[28:29], -v[20:21]
	v_add_f64 v[20:21], v[20:21], v[28:29]
	v_add_f64 v[10:11], v[10:11], -v[12:13]
	v_add_f64 v[12:13], v[24:25], -v[47:48]
	ds_write2_b64 v123, v[2:3], v[39:40] offset1:51
	ds_write2_b64 v123, v[59:60], v[61:62] offset0:102 offset1:153
	ds_write2_b64 v123, v[18:19], v[0:1] offset0:204 offset1:255
	;; [unrolled: 1-line block ×6, first 2 shown]
	v_add_f64 v[28:29], v[51:52], -v[55:56]
	v_add_f64 v[47:48], v[43:44], -v[6:7]
	v_add_f64 v[63:64], v[14:15], v[35:36]
	v_add_f64 v[35:36], v[35:36], -v[14:15]
	v_add_f64 v[43:44], v[6:7], v[43:44]
	v_add_f64 v[51:52], v[55:56], v[51:52]
	v_add_f64 v[55:56], v[8:9], -v[22:23]
	v_add_f64 v[65:66], v[37:38], -v[4:5]
	v_add_f64 v[67:68], v[16:17], v[26:27]
	v_add_f64 v[69:70], v[26:27], -v[16:17]
	v_add_f64 v[37:38], v[4:5], v[37:38]
	v_add_f64 v[71:72], v[22:23], v[8:9]
	s_waitcnt lgkmcnt(0)
	s_barrier
	buffer_gl0_inv
	ds_read2_b64 v[0:3], v123 offset1:204
	ds_read2_b64 v[8:11], v126 offset0:101 offset1:152
	ds_read_b64 v[20:21], v32
	ds_read_b64 v[26:27], v123 offset:5304
	ds_read_b64 v[24:25], v125
	ds_read_b64 v[22:23], v124
	ds_read2_b64 v[16:19], v126 offset0:203 offset1:254
	ds_read2_b64 v[12:15], v128 offset0:49 offset1:100
	;; [unrolled: 1-line block ×3, first 2 shown]
	s_waitcnt lgkmcnt(0)
	s_barrier
	buffer_gl0_inv
	ds_write2_b64 v123, v[57:58], v[28:29] offset1:51
	ds_write2_b64 v123, v[47:48], v[63:64] offset0:102 offset1:153
	ds_write2_b64 v123, v[35:36], v[43:44] offset0:204 offset1:255
	;; [unrolled: 1-line block ×6, first 2 shown]
	s_waitcnt lgkmcnt(0)
	s_barrier
	buffer_gl0_inv
	s_and_saveexec_b32 s0, vcc_lo
	s_cbranch_execz .LBB0_29
; %bb.28:
	v_add_nc_u32_e32 v28, 0x132, v90
	v_mov_b32_e32 v29, 0
	v_add_nc_u32_e32 v77, 0xff, v90
	v_add_nc_u32_e32 v79, 0xcc, v90
	v_mad_u64_u32 v[88:89], null, s2, v90, 0
	v_lshlrev_b64 v[33:34], 4, v[28:29]
	v_mov_b32_e32 v78, v29
	v_mov_b32_e32 v80, v29
	;; [unrolled: 1-line block ×5, first 2 shown]
	v_add_co_u32 v31, vcc_lo, s8, v33
	v_add_co_ci_u32_e32 v36, vcc_lo, s9, v34, vcc_lo
	v_lshlrev_b64 v[33:34], 4, v[77:78]
	v_add_co_u32 v35, vcc_lo, 0x1000, v31
	v_add_co_ci_u32_e32 v36, vcc_lo, 0, v36, vcc_lo
	v_lshlrev_b64 v[45:46], 4, v[97:98]
	;; [unrolled: 3-line block ×4, first 2 shown]
	v_add_co_u32 v31, vcc_lo, s8, v33
	v_add_co_ci_u32_e32 v33, vcc_lo, s9, v34, vcc_lo
	v_mov_b32_e32 v95, v29
	v_add_co_u32 v41, vcc_lo, 0x1000, v31
	v_add_co_ci_u32_e32 v42, vcc_lo, 0, v33, vcc_lo
	v_add_co_u32 v31, vcc_lo, s8, v45
	v_add_co_ci_u32_e32 v51, vcc_lo, s9, v46, vcc_lo
	;; [unrolled: 2-line block ×3, first 2 shown]
	v_lshlrev_b64 v[45:46], 4, v[90:91]
	v_add_co_u32 v53, vcc_lo, 0x1000, v47
	v_add_co_ci_u32_e32 v54, vcc_lo, 0, v48, vcc_lo
	v_lshlrev_b64 v[47:48], 4, v[94:95]
	v_add_co_u32 v29, vcc_lo, s8, v45
	v_add_co_ci_u32_e32 v46, vcc_lo, s9, v46, vcc_lo
	s_clause 0x2
	global_load_dwordx4 v[33:36], v[35:36], off offset:1568
	global_load_dwordx4 v[37:40], v[37:38], off offset:1568
	;; [unrolled: 1-line block ×3, first 2 shown]
	v_add_co_u32 v47, vcc_lo, s8, v47
	v_add_co_ci_u32_e32 v48, vcc_lo, s9, v48, vcc_lo
	v_add_co_u32 v45, vcc_lo, 0x1000, v29
	v_add_co_ci_u32_e32 v46, vcc_lo, 0, v46, vcc_lo
	;; [unrolled: 2-line block ×3, first 2 shown]
	v_add_co_u32 v57, vcc_lo, 0x1000, v31
	global_load_dwordx4 v[45:48], v[45:46], off offset:1568
	v_add_co_ci_u32_e32 v58, vcc_lo, 0, v51, vcc_lo
	s_clause 0x2
	global_load_dwordx4 v[49:52], v[49:50], off offset:1568
	global_load_dwordx4 v[53:56], v[53:54], off offset:1568
	global_load_dwordx4 v[57:60], v[57:58], off offset:1568
	v_add_co_u32 v133, vcc_lo, s12, v92
	v_mad_u64_u32 v[91:92], null, s2, v121, 0
	v_add_co_ci_u32_e32 v134, vcc_lo, s13, v93, vcc_lo
	v_mad_u64_u32 v[93:94], null, s2, v120, 0
	v_mad_u64_u32 v[95:96], null, s2, v122, 0
	v_add_nc_u32_e32 v110, 0x165, v90
	v_add_nc_u32_e32 v111, 0x198, v90
	;; [unrolled: 1-line block ×3, first 2 shown]
	v_mul_hi_u32 v114, 0x16f26017, v79
	v_mov_b32_e32 v78, v89
	v_add_nc_u32_e32 v113, 0x1fe, v90
	v_mad_u64_u32 v[97:98], null, s2, v110, 0
	v_mul_hi_u32 v115, 0x16f26017, v77
	v_mul_hi_u32 v116, 0x16f26017, v28
	v_mov_b32_e32 v89, v92
	v_mov_b32_e32 v92, v94
	;; [unrolled: 1-line block ×3, first 2 shown]
	v_mad_u64_u32 v[99:100], null, s2, v111, 0
	v_mad_u64_u32 v[101:102], null, s2, v112, 0
	v_mad_u64_u32 v[105:106], null, s3, v90, v[78:79]
	v_mad_u64_u32 v[103:104], null, s2, v113, 0
	v_mad_u64_u32 v[106:107], null, s3, v121, v[89:90]
	v_mad_u64_u32 v[107:108], null, s3, v120, v[92:93]
	v_add_nc_u32_e32 v29, 0x1000, v123
	v_mad_u64_u32 v[108:109], null, s3, v122, v[94:95]
	v_lshrrev_b32_e32 v94, 5, v114
	v_add_nc_u32_e32 v73, 0x800, v123
	v_mov_b32_e32 v78, v98
	v_lshrrev_b32_e32 v96, 5, v115
	v_lshrrev_b32_e32 v98, 5, v116
	v_mov_b32_e32 v89, v100
	v_mov_b32_e32 v90, v102
	ds_read2_b64 v[61:64], v30 offset0:127 offset1:178
	ds_read_b64 v[80:81], v123 offset:5304
	ds_read2_b64 v[65:68], v123 offset1:204
	ds_read_b64 v[82:83], v124
	ds_read_b64 v[84:85], v32
	;; [unrolled: 1-line block ×3, first 2 shown]
	ds_read2_b64 v[29:32], v29 offset0:49 offset1:100
	ds_read2_b64 v[69:72], v73 offset0:203 offset1:254
	;; [unrolled: 1-line block ×3, first 2 shown]
	v_mad_u32_u24 v115, 0x165, v94, v79
	v_mov_b32_e32 v92, v104
	v_mad_u32_u24 v117, 0x165, v96, v77
	v_mad_u32_u24 v118, 0x165, v98, v28
	v_mad_u64_u32 v[109:110], null, s3, v110, v[78:79]
	v_mad_u64_u32 v[110:111], null, s3, v111, v[89:90]
	;; [unrolled: 1-line block ×5, first 2 shown]
	v_mov_b32_e32 v89, v105
	v_mov_b32_e32 v92, v106
	;; [unrolled: 1-line block ×4, first 2 shown]
	v_mad_u64_u32 v[105:106], null, s2, v117, 0
	v_mad_u64_u32 v[107:108], null, s2, v118, 0
	v_add_nc_u32_e32 v119, 0x165, v115
	v_add_nc_u32_e32 v120, 0x165, v117
	;; [unrolled: 1-line block ×3, first 2 shown]
	v_mov_b32_e32 v98, v109
	v_mov_b32_e32 v100, v110
	v_mad_u64_u32 v[109:110], null, s2, v119, 0
	v_mov_b32_e32 v28, v78
	v_mov_b32_e32 v102, v111
	;; [unrolled: 1-line block ×3, first 2 shown]
	v_mad_u64_u32 v[111:112], null, s2, v120, 0
	v_mad_u64_u32 v[113:114], null, s2, v121, 0
	v_mov_b32_e32 v78, v106
	v_mov_b32_e32 v79, v108
	s_waitcnt lgkmcnt(2)
	v_mad_u64_u32 v[115:116], null, s3, v115, v[28:29]
	v_mov_b32_e32 v28, v110
	v_lshlrev_b64 v[88:89], 4, v[88:89]
	v_mad_u64_u32 v[116:117], null, s3, v117, v[78:79]
	v_mov_b32_e32 v78, v112
	v_mad_u64_u32 v[117:118], null, s3, v118, v[79:80]
	v_mov_b32_e32 v79, v114
	;; [unrolled: 2-line block ×3, first 2 shown]
	v_lshlrev_b64 v[90:91], 4, v[91:92]
	v_mad_u64_u32 v[119:120], null, s3, v120, v[78:79]
	v_mov_b32_e32 v78, v115
	v_mad_u64_u32 v[120:121], null, s3, v121, v[79:80]
	v_lshlrev_b64 v[92:93], 4, v[93:94]
	v_add_co_u32 v88, vcc_lo, v133, v88
	v_add_co_ci_u32_e32 v89, vcc_lo, v134, v89, vcc_lo
	v_lshlrev_b64 v[94:95], 4, v[95:96]
	v_add_co_u32 v90, vcc_lo, v133, v90
	v_add_co_ci_u32_e32 v91, vcc_lo, v134, v91, vcc_lo
	;; [unrolled: 3-line block ×6, first 2 shown]
	v_add_co_u32 v100, vcc_lo, v133, v100
	v_lshlrev_b64 v[77:78], 4, v[77:78]
	v_mov_b32_e32 v108, v117
	v_add_co_ci_u32_e32 v101, vcc_lo, v134, v101, vcc_lo
	v_add_co_u32 v102, vcc_lo, v133, v102
	v_lshlrev_b64 v[104:105], 4, v[105:106]
	v_add_co_ci_u32_e32 v103, vcc_lo, v134, v103, vcc_lo
	v_mov_b32_e32 v110, v118
	v_mov_b32_e32 v112, v119
	;; [unrolled: 1-line block ×3, first 2 shown]
	s_waitcnt vmcnt(6)
	v_mul_f64 v[115:116], v[26:27], v[35:36]
	v_mul_f64 v[35:36], v[80:81], v[35:36]
	s_waitcnt vmcnt(5)
	v_mul_f64 v[121:122], v[14:15], v[39:40]
	s_waitcnt vmcnt(4)
	v_mul_f64 v[123:124], v[12:13], v[43:44]
	v_mul_f64 v[43:44], v[29:30], v[43:44]
	;; [unrolled: 1-line block ×3, first 2 shown]
	s_waitcnt vmcnt(3)
	v_mul_f64 v[125:126], v[8:9], v[47:48]
	s_waitcnt lgkmcnt(0)
	v_mul_f64 v[47:48], v[73:74], v[47:48]
	s_waitcnt vmcnt(2)
	v_mul_f64 v[127:128], v[10:11], v[51:52]
	v_mul_f64 v[51:52], v[75:76], v[51:52]
	s_waitcnt vmcnt(1)
	v_mul_f64 v[129:130], v[16:17], v[55:56]
	v_mul_f64 v[55:56], v[69:70], v[55:56]
	s_waitcnt vmcnt(0)
	v_mul_f64 v[131:132], v[18:19], v[59:60]
	v_mul_f64 v[59:60], v[71:72], v[59:60]
	v_fma_f64 v[79:80], v[80:81], v[33:34], v[115:116]
	v_fma_f64 v[26:27], v[26:27], v[33:34], -v[35:36]
	v_fma_f64 v[31:32], v[31:32], v[37:38], v[121:122]
	v_fma_f64 v[12:13], v[12:13], v[41:42], -v[43:44]
	;; [unrolled: 2-line block ×7, first 2 shown]
	v_add_f64 v[8:9], v[6:7], -v[26:27]
	v_add_f64 v[14:15], v[61:62], -v[31:32]
	;; [unrolled: 1-line block ×4, first 2 shown]
	v_lshlrev_b64 v[59:60], 4, v[107:108]
	v_add_co_u32 v75, vcc_lo, v133, v77
	v_add_co_ci_u32_e32 v76, vcc_lo, v134, v78, vcc_lo
	v_add_co_u32 v77, vcc_lo, v133, v104
	v_add_co_ci_u32_e32 v78, vcc_lo, v134, v105, vcc_lo
	v_add_f64 v[18:19], v[65:66], -v[33:34]
	v_add_f64 v[16:17], v[0:1], -v[35:36]
	;; [unrolled: 1-line block ×10, first 2 shown]
	v_add_co_u32 v79, vcc_lo, v133, v59
	v_lshlrev_b64 v[69:70], 4, v[109:110]
	v_add_co_ci_u32_e32 v80, vcc_lo, v134, v60, vcc_lo
	v_fma_f64 v[42:43], v[6:7], 2.0, -v[8:9]
	v_fma_f64 v[6:7], v[61:62], 2.0, -v[14:15]
	;; [unrolled: 1-line block ×3, first 2 shown]
	v_lshlrev_b64 v[71:72], 4, v[111:112]
	v_fma_f64 v[44:45], v[63:64], 2.0, -v[10:11]
	v_lshlrev_b64 v[73:74], 4, v[113:114]
	v_fma_f64 v[48:49], v[65:66], 2.0, -v[18:19]
	v_fma_f64 v[46:47], v[0:1], 2.0, -v[16:17]
	;; [unrolled: 1-line block ×10, first 2 shown]
	v_add_co_u32 v0, vcc_lo, v133, v69
	v_add_co_ci_u32_e32 v1, vcc_lo, v134, v70, vcc_lo
	v_add_co_u32 v2, vcc_lo, v133, v71
	v_add_co_ci_u32_e32 v3, vcc_lo, v134, v72, vcc_lo
	;; [unrolled: 2-line block ×3, first 2 shown]
	global_store_dwordx4 v[88:89], v[46:49], off
	global_store_dwordx4 v[96:97], v[16:19], off
	;; [unrolled: 1-line block ×14, first 2 shown]
.LBB0_29:
	s_endpgm
	.section	.rodata,"a",@progbits
	.p2align	6, 0x0
	.amdhsa_kernel fft_rtc_fwd_len714_factors_3_17_7_2_wgs_51_tpt_51_halfLds_dp_ip_CI_sbrr_dirReg
		.amdhsa_group_segment_fixed_size 0
		.amdhsa_private_segment_fixed_size 0
		.amdhsa_kernarg_size 88
		.amdhsa_user_sgpr_count 6
		.amdhsa_user_sgpr_private_segment_buffer 1
		.amdhsa_user_sgpr_dispatch_ptr 0
		.amdhsa_user_sgpr_queue_ptr 0
		.amdhsa_user_sgpr_kernarg_segment_ptr 1
		.amdhsa_user_sgpr_dispatch_id 0
		.amdhsa_user_sgpr_flat_scratch_init 0
		.amdhsa_user_sgpr_private_segment_size 0
		.amdhsa_wavefront_size32 1
		.amdhsa_uses_dynamic_stack 0
		.amdhsa_system_sgpr_private_segment_wavefront_offset 0
		.amdhsa_system_sgpr_workgroup_id_x 1
		.amdhsa_system_sgpr_workgroup_id_y 0
		.amdhsa_system_sgpr_workgroup_id_z 0
		.amdhsa_system_sgpr_workgroup_info 0
		.amdhsa_system_vgpr_workitem_id 0
		.amdhsa_next_free_vgpr 229
		.amdhsa_next_free_sgpr 58
		.amdhsa_reserve_vcc 1
		.amdhsa_reserve_flat_scratch 0
		.amdhsa_float_round_mode_32 0
		.amdhsa_float_round_mode_16_64 0
		.amdhsa_float_denorm_mode_32 3
		.amdhsa_float_denorm_mode_16_64 3
		.amdhsa_dx10_clamp 1
		.amdhsa_ieee_mode 1
		.amdhsa_fp16_overflow 0
		.amdhsa_workgroup_processor_mode 1
		.amdhsa_memory_ordered 1
		.amdhsa_forward_progress 0
		.amdhsa_shared_vgpr_count 0
		.amdhsa_exception_fp_ieee_invalid_op 0
		.amdhsa_exception_fp_denorm_src 0
		.amdhsa_exception_fp_ieee_div_zero 0
		.amdhsa_exception_fp_ieee_overflow 0
		.amdhsa_exception_fp_ieee_underflow 0
		.amdhsa_exception_fp_ieee_inexact 0
		.amdhsa_exception_int_div_zero 0
	.end_amdhsa_kernel
	.text
.Lfunc_end0:
	.size	fft_rtc_fwd_len714_factors_3_17_7_2_wgs_51_tpt_51_halfLds_dp_ip_CI_sbrr_dirReg, .Lfunc_end0-fft_rtc_fwd_len714_factors_3_17_7_2_wgs_51_tpt_51_halfLds_dp_ip_CI_sbrr_dirReg
                                        ; -- End function
	.section	.AMDGPU.csdata,"",@progbits
; Kernel info:
; codeLenInByte = 14908
; NumSgprs: 60
; NumVgprs: 229
; ScratchSize: 0
; MemoryBound: 1
; FloatMode: 240
; IeeeMode: 1
; LDSByteSize: 0 bytes/workgroup (compile time only)
; SGPRBlocks: 7
; VGPRBlocks: 28
; NumSGPRsForWavesPerEU: 60
; NumVGPRsForWavesPerEU: 229
; Occupancy: 4
; WaveLimiterHint : 1
; COMPUTE_PGM_RSRC2:SCRATCH_EN: 0
; COMPUTE_PGM_RSRC2:USER_SGPR: 6
; COMPUTE_PGM_RSRC2:TRAP_HANDLER: 0
; COMPUTE_PGM_RSRC2:TGID_X_EN: 1
; COMPUTE_PGM_RSRC2:TGID_Y_EN: 0
; COMPUTE_PGM_RSRC2:TGID_Z_EN: 0
; COMPUTE_PGM_RSRC2:TIDIG_COMP_CNT: 0
	.text
	.p2alignl 6, 3214868480
	.fill 48, 4, 3214868480
	.type	__hip_cuid_b5b256700412006,@object ; @__hip_cuid_b5b256700412006
	.section	.bss,"aw",@nobits
	.globl	__hip_cuid_b5b256700412006
__hip_cuid_b5b256700412006:
	.byte	0                               ; 0x0
	.size	__hip_cuid_b5b256700412006, 1

	.ident	"AMD clang version 19.0.0git (https://github.com/RadeonOpenCompute/llvm-project roc-6.4.0 25133 c7fe45cf4b819c5991fe208aaa96edf142730f1d)"
	.section	".note.GNU-stack","",@progbits
	.addrsig
	.addrsig_sym __hip_cuid_b5b256700412006
	.amdgpu_metadata
---
amdhsa.kernels:
  - .args:
      - .actual_access:  read_only
        .address_space:  global
        .offset:         0
        .size:           8
        .value_kind:     global_buffer
      - .offset:         8
        .size:           8
        .value_kind:     by_value
      - .actual_access:  read_only
        .address_space:  global
        .offset:         16
        .size:           8
        .value_kind:     global_buffer
      - .actual_access:  read_only
        .address_space:  global
        .offset:         24
        .size:           8
        .value_kind:     global_buffer
      - .offset:         32
        .size:           8
        .value_kind:     by_value
      - .actual_access:  read_only
        .address_space:  global
        .offset:         40
        .size:           8
        .value_kind:     global_buffer
      - .actual_access:  read_only
        .address_space:  global
        .offset:         48
        .size:           8
        .value_kind:     global_buffer
      - .offset:         56
        .size:           4
        .value_kind:     by_value
      - .actual_access:  read_only
        .address_space:  global
        .offset:         64
        .size:           8
        .value_kind:     global_buffer
      - .actual_access:  read_only
        .address_space:  global
        .offset:         72
        .size:           8
        .value_kind:     global_buffer
      - .address_space:  global
        .offset:         80
        .size:           8
        .value_kind:     global_buffer
    .group_segment_fixed_size: 0
    .kernarg_segment_align: 8
    .kernarg_segment_size: 88
    .language:       OpenCL C
    .language_version:
      - 2
      - 0
    .max_flat_workgroup_size: 51
    .name:           fft_rtc_fwd_len714_factors_3_17_7_2_wgs_51_tpt_51_halfLds_dp_ip_CI_sbrr_dirReg
    .private_segment_fixed_size: 0
    .sgpr_count:     60
    .sgpr_spill_count: 0
    .symbol:         fft_rtc_fwd_len714_factors_3_17_7_2_wgs_51_tpt_51_halfLds_dp_ip_CI_sbrr_dirReg.kd
    .uniform_work_group_size: 1
    .uses_dynamic_stack: false
    .vgpr_count:     229
    .vgpr_spill_count: 0
    .wavefront_size: 32
    .workgroup_processor_mode: 1
amdhsa.target:   amdgcn-amd-amdhsa--gfx1030
amdhsa.version:
  - 1
  - 2
...

	.end_amdgpu_metadata
